;; amdgpu-corpus repo=ROCm/aiter kind=harvested arch=n/a opt=n/a

/root/src/amdgpu-assembly/repos/ROCm__aiter/hsa/gfx942/fmoe/gelu/fmoe_bf16_pertokenInt8_g1u0_gelu_1tg_32x320.co:	file format elf64-amdgpu

Disassembly of section .text:

0000000000002e00 <_ZN5aiter43fmoe_bf16_pertokenInt8_g1u0_gelu_1tg_32x320E>:
	s_and_b32 s1, s1, 0xffff                                   // 000000002E00: 8601FF01 0000FFFF
	s_load_dwordx2 s[8:9], s[0:1], 0x0                         // 000000002E08: C0060200 00000000
	s_load_dwordx2 s[20:21], s[0:1], 0x10                      // 000000002E10: C0060500 00000010
	s_load_dwordx2 s[24:25], s[0:1], 0x20                      // 000000002E18: C0060600 00000020
	s_load_dwordx2 s[50:51], s[0:1], 0x30                      // 000000002E20: C0060C80 00000030
	s_load_dwordx2 s[12:13], s[0:1], 0x40                      // 000000002E28: C0060300 00000040
	s_load_dwordx2 s[28:29], s[0:1], 0x50                      // 000000002E30: C0060700 00000050
	s_load_dwordx2 s[32:33], s[0:1], 0x60                      // 000000002E38: C0060800 00000060
	s_load_dwordx2 s[16:17], s[0:1], 0x70                      // 000000002E40: C0060400 00000070
	s_load_dwordx2 s[36:37], s[0:1], 0x80                      // 000000002E48: C0060900 00000080
	s_load_dwordx2 s[44:45], s[0:1], 0x90                      // 000000002E50: C0060B00 00000090
	s_load_dwordx2 s[40:41], s[0:1], 0xa0                      // 000000002E58: C0060A00 000000A0
	s_load_dwordx2 s[46:47], s[0:1], 0xb0                      // 000000002E60: C0060B80 000000B0
	s_load_dword s64, s[0:1], 0xc0                             // 000000002E68: C0021000 000000C0
	s_load_dword s65, s[0:1], 0xd0                             // 000000002E70: C0021040 000000D0
	s_load_dword s66, s[0:1], 0xe0                             // 000000002E78: C0021080 000000E0
	s_load_dword s67, s[0:1], 0xf0                             // 000000002E80: C00210C0 000000F0
	s_load_dword s68, s[0:1], 0x100                            // 000000002E88: C0021100 00000100
	s_load_dword s69, s[0:1], 0x110                            // 000000002E90: C0021140 00000110
	s_load_dword s70, s[0:1], 0x120                            // 000000002E98: C0021180 00000120
	s_load_dword s71, s[0:1], 0x130                            // 000000002EA0: C00211C0 00000130
	s_load_dword s72, s[0:1], 0x140                            // 000000002EA8: C0021200 00000140
	s_load_dword s73, s[0:1], 0x150                            // 000000002EB0: C0021240 00000150
	s_load_dword s74, s[0:1], 0x160                            // 000000002EB8: C0021280 00000160
	s_load_dword s75, s[0:1], 0x170                            // 000000002EC0: C00212C0 00000170
	s_load_dword s76, s[0:1], 0x180                            // 000000002EC8: C0021300 00000180
	s_load_dword s63, s[0:1], 0x190                            // 000000002ED0: C0020FC0 00000190
	v_lshrrev_b32_e32 v1, 10, v0                               // 000000002ED8: 2002008A
	v_lshrrev_b32_e32 v2, 10, v1                               // 000000002EDC: 2004028A
	v_and_b32_e32 v2, 0x3ff, v2                                // 000000002EE0: 260404FF 000003FF
	v_and_b32_e32 v1, 0x3ff, v1                                // 000000002EE8: 260202FF 000003FF
	v_and_b32_e32 v0, 0x3ff, v0                                // 000000002EF0: 260000FF 000003FF
	v_lshrrev_b32_e32 v3, 6, v0                                // 000000002EF8: 20060086
	v_and_b32_e32 v0, 63, v0                                   // 000000002EFC: 260000BF
	s_mov_b32 s2, s2                                           // 000000002F00: BE820002
	s_mov_b32 s3, s3                                           // 000000002F04: BE830003
	s_mov_b32 s4, s4                                           // 000000002F08: BE840004
	v_readfirstlane_b32 s7, v3                                 // 000000002F0C: 7E0E0503
	s_waitcnt lgkmcnt(0)                                       // 000000002F10: BF8CC07F
	s_and_b32 s51, s51, 0xffff                                 // 000000002F14: 8633FF33 0000FFFF
	s_load_dword s50, s[50:51], 0x0                            // 000000002F1C: C0020C99 00000000
	s_and_b32 s45, s45, 0xffff                                 // 000000002F24: 862DFF2D 0000FFFF
	s_and_b32 s47, s47, 0xffff                                 // 000000002F2C: 862FFF2F 0000FFFF
	s_and_b32 s9, s9, 0xffff                                   // 000000002F34: 8609FF09 0000FFFF
	s_mul_i32 s60, s66, s68                                    // 000000002F3C: 923C4442
	s_mul_i32 s60, s63, s60                                    // 000000002F40: 923C3C3F
	s_mul_i32 s61, s66, 4                                      // 000000002F44: 923D8442
	s_mul_i32 s61, s63, s61                                    // 000000002F48: 923D3D3F
	s_mov_b32 s22, s60                                         // 000000002F4C: BE96003C
	s_mov_b32 s26, -16                                         // 000000002F50: BE9A00D0
	s_mov_b32 s14, -16                                         // 000000002F54: BE8E00D0
	s_mov_b32 s42, -16                                         // 000000002F58: BEAA00D0
	s_mov_b32 s30, s61                                         // 000000002F5C: BE9E003D
	s_mov_b32 s34, 0x500                                       // 000000002F60: BEA200FF 00000500
	s_mov_b32 s38, 0x500                                       // 000000002F68: BEA600FF 00000500
	s_mov_b32 s18, -16                                         // 000000002F70: BE9200D0
	s_mov_b32 s23, 0x20000                                     // 000000002F74: BE9700FF 00020000
	s_mov_b32 s27, 0x20000                                     // 000000002F7C: BE9B00FF 00020000
	s_mov_b32 s15, 0x20000                                     // 000000002F84: BE8F00FF 00020000
	s_mov_b32 s43, 0x20000                                     // 000000002F8C: BEAB00FF 00020000
	s_mov_b32 s31, 0x20000                                     // 000000002F94: BE9F00FF 00020000
	s_mov_b32 s35, 0x20000                                     // 000000002F9C: BEA300FF 00020000
	s_mov_b32 s39, 0x20000                                     // 000000002FA4: BEA700FF 00020000
	s_mov_b32 s19, 0x20000                                     // 000000002FAC: BE9300FF 00020000
	s_and_b32 s21, s21, 0xffff                                 // 000000002FB4: 8615FF15 0000FFFF
	s_and_b32 s25, s25, 0xffff                                 // 000000002FBC: 8619FF19 0000FFFF
	s_and_b32 s13, s13, 0xffff                                 // 000000002FC4: 860DFF0D 0000FFFF
	s_and_b32 s41, s41, 0xffff                                 // 000000002FCC: 8629FF29 0000FFFF
	s_and_b32 s29, s29, 0xffff                                 // 000000002FD4: 861DFF1D 0000FFFF
	s_and_b32 s33, s33, 0xffff                                 // 000000002FDC: 8621FF21 0000FFFF
	s_and_b32 s37, s37, 0xffff                                 // 000000002FE4: 8625FF25 0000FFFF
	s_and_b32 s17, s17, 0xffff                                 // 000000002FEC: 8611FF11 0000FFFF
	s_or_b32 s21, s21, 0x40000                                 // 000000002FF4: 8715FF15 00040000
	s_or_b32 s25, s25, 0x40000                                 // 000000002FFC: 8719FF19 00040000
	s_or_b32 s13, s13, 0x40000                                 // 000000003004: 870DFF0D 00040000
	s_or_b32 s41, s41, 0x40000                                 // 00000000300C: 8729FF29 00040000
	s_or_b32 s29, s29, 0x40000                                 // 000000003014: 871DFF1D 00040000
	s_or_b32 s33, s33, 0x40000                                 // 00000000301C: 8721FF21 00040000
	s_or_b32 s37, s37, 0x40000                                 // 000000003024: 8725FF25 00040000
	s_or_b32 s17, s17, 0x40000                                 // 00000000302C: 8711FF11 00040000
	v_accvgpr_write_b32 a159, 0                                // 000000003034: D3D9409F 18000080
	v_mov_b32_e32 v231, 0                                      // 00000000303C: 7FCE0280
	s_waitcnt lgkmcnt(0)                                       // 000000003040: BF8CC07F
	s_mul_i32 s60, s3, 32                                      // 000000003044: 923CA003
	s_cmp_lt_i32 s60, s50                                      // 000000003048: BF04323C
	s_cbranch_scc0 label_1AB4                                  // 00000000304C: BF841A20
	s_mov_b32 s80, 0                                           // 000000003050: BED00080
	s_mov_b32 s81, s64                                         // 000000003054: BED10040
	s_mul_i32 s60, s3, 4                                       // 000000003058: 923C8403
	s_add_u32 s46, s60, s46                                    // 00000000305C: 802E2E3C
	s_addc_u32 s47, 0, s47                                     // 000000003060: 822F2F80
	s_load_dword s5, s[46:47], 0x0                             // 000000003064: C0020157 00000000
	s_mul_i32 s60, s3, 32                                      // 00000000306C: 923CA003
	s_mul_i32 s60, 4, s60                                      // 000000003070: 923C3C84
	v_and_b32_e32 v48, 15, v0                                  // 000000003074: 2660008F
	v_lshlrev_b32_e32 v48, 2, v48                              // 000000003078: 24606082
	v_add_u32_e32 v48, s60, v48                                // 00000000307C: 6860603C
	v_mov_b32_e32 v49, 0                                       // 000000003080: 7E620280
	global_load_dword v6, v48, s[44:45]                        // 000000003084: DC508000 062C0030
	v_add_u32_e32 v48, 64, v48                                 // 00000000308C: 686060C0
	global_load_dword v7, v48, s[44:45]                        // 000000003090: DC508000 072C0030
	s_mul_i32 s60, s3, 32                                      // 000000003098: 923CA003
	s_add_u32 s60, s7, s60                                     // 00000000309C: 803C3C07
	s_mul_i32 s60, 4, s60                                      // 0000000030A0: 923C3C84
	s_add_u32 s44, s60, s44                                    // 0000000030A4: 802C2C3C
	s_addc_u32 s45, 0, s45                                     // 0000000030A8: 822D2D80
	s_load_dword s82, s[44:45], 0x0                            // 0000000030AC: C0021496 00000000
	s_load_dword s83, s[44:45], 0x10                           // 0000000030B4: C00214D6 00000010
	s_load_dword s84, s[44:45], 0x20                           // 0000000030BC: C0021516 00000020
	s_load_dword s85, s[44:45], 0x30                           // 0000000030C4: C0021556 00000030
	s_load_dword s86, s[44:45], 0x40                           // 0000000030CC: C0021596 00000040
	s_load_dword s87, s[44:45], 0x50                           // 0000000030D4: C00215D6 00000050
	s_load_dword s88, s[44:45], 0x60                           // 0000000030DC: C0021616 00000060
	s_load_dword s89, s[44:45], 0x70                           // 0000000030E4: C0021656 00000070
	s_waitcnt lgkmcnt(0)                                       // 0000000030EC: BF8CC07F
	v_lshlrev_b32_e32 v48, 2, v0                               // 0000000030F0: 24600082
	s_lshr_b32 s61, s82, 24                                    // 0000000030F4: 8F3D9852
	s_mul_i32 s61, s61, s68                                    // 0000000030F8: 923D443D
	s_mul_i32 s61, s61, s66                                    // 0000000030FC: 923D423D
	s_and_b32 s82, s82, 0xffffff                               // 000000003100: 8652FF52 00FFFFFF
	s_mul_i32 s60, s82, s68                                    // 000000003108: 923C4452
	s_add_u32 s60, s61, s60                                    // 00000000310C: 803C3C3D
	v_add_u32_e64 v26, v48, s60                                // 000000003110: D134001A 00007930
	s_lshr_b32 s61, s83, 24                                    // 000000003118: 8F3D9853
	s_mul_i32 s61, s61, s68                                    // 00000000311C: 923D443D
	s_mul_i32 s61, s61, s66                                    // 000000003120: 923D423D
	s_and_b32 s83, s83, 0xffffff                               // 000000003124: 8653FF53 00FFFFFF
	s_mul_i32 s60, s83, s68                                    // 00000000312C: 923C4453
	s_add_u32 s60, s61, s60                                    // 000000003130: 803C3C3D
	v_add_u32_e64 v27, v48, s60                                // 000000003134: D134001B 00007930
	s_lshr_b32 s61, s84, 24                                    // 00000000313C: 8F3D9854
	s_mul_i32 s61, s61, s68                                    // 000000003140: 923D443D
	s_mul_i32 s61, s61, s66                                    // 000000003144: 923D423D
	s_and_b32 s84, s84, 0xffffff                               // 000000003148: 8654FF54 00FFFFFF
	s_mul_i32 s60, s84, s68                                    // 000000003150: 923C4454
	s_add_u32 s60, s61, s60                                    // 000000003154: 803C3C3D
	v_add_u32_e64 v28, v48, s60                                // 000000003158: D134001C 00007930
	s_lshr_b32 s61, s85, 24                                    // 000000003160: 8F3D9855
	s_mul_i32 s61, s61, s68                                    // 000000003164: 923D443D
	s_mul_i32 s61, s61, s66                                    // 000000003168: 923D423D
	s_and_b32 s85, s85, 0xffffff                               // 00000000316C: 8655FF55 00FFFFFF
	s_mul_i32 s60, s85, s68                                    // 000000003174: 923C4455
	s_add_u32 s60, s61, s60                                    // 000000003178: 803C3C3D
	v_add_u32_e64 v29, v48, s60                                // 00000000317C: D134001D 00007930
	s_lshr_b32 s61, s86, 24                                    // 000000003184: 8F3D9856
	s_mul_i32 s61, s61, s68                                    // 000000003188: 923D443D
	s_mul_i32 s61, s61, s66                                    // 00000000318C: 923D423D
	s_and_b32 s86, s86, 0xffffff                               // 000000003190: 8656FF56 00FFFFFF
	s_mul_i32 s60, s86, s68                                    // 000000003198: 923C4456
	s_add_u32 s60, s61, s60                                    // 00000000319C: 803C3C3D
	v_add_u32_e64 v30, v48, s60                                // 0000000031A0: D134001E 00007930
	s_lshr_b32 s61, s87, 24                                    // 0000000031A8: 8F3D9857
	s_mul_i32 s61, s61, s68                                    // 0000000031AC: 923D443D
	s_mul_i32 s61, s61, s66                                    // 0000000031B0: 923D423D
	s_and_b32 s87, s87, 0xffffff                               // 0000000031B4: 8657FF57 00FFFFFF
	s_mul_i32 s60, s87, s68                                    // 0000000031BC: 923C4457
	s_add_u32 s60, s61, s60                                    // 0000000031C0: 803C3C3D
	v_add_u32_e64 v31, v48, s60                                // 0000000031C4: D134001F 00007930
	s_lshr_b32 s61, s88, 24                                    // 0000000031CC: 8F3D9858
	s_mul_i32 s61, s61, s68                                    // 0000000031D0: 923D443D
	s_mul_i32 s61, s61, s66                                    // 0000000031D4: 923D423D
	s_and_b32 s88, s88, 0xffffff                               // 0000000031D8: 8658FF58 00FFFFFF
	s_mul_i32 s60, s88, s68                                    // 0000000031E0: 923C4458
	s_add_u32 s60, s61, s60                                    // 0000000031E4: 803C3C3D
	v_add_u32_e64 v32, v48, s60                                // 0000000031E8: D1340020 00007930
	s_lshr_b32 s61, s89, 24                                    // 0000000031F0: 8F3D9859
	s_mul_i32 s61, s61, s68                                    // 0000000031F4: 923D443D
	s_mul_i32 s61, s61, s66                                    // 0000000031F8: 923D423D
	s_and_b32 s89, s89, 0xffffff                               // 0000000031FC: 8659FF59 00FFFFFF
	s_mul_i32 s60, s89, s68                                    // 000000003204: 923C4459
	s_add_u32 s60, s61, s60                                    // 000000003208: 803C3C3D
	v_add_u32_e64 v33, v48, s60                                // 00000000320C: D1340021 00007930
	v_lshlrev_b32_e32 v48, 2, v0                               // 000000003214: 24600082
	s_mul_i32 s60, s82, s71                                    // 000000003218: 923C4752
	v_add_u32_e64 v80, v48, s60                                // 00000000321C: D1340050 00007930
	v_mov_b32_e32 v81, 0                                       // 000000003224: 7EA20280
	s_mul_i32 s60, s83, s71                                    // 000000003228: 923C4753
	v_add_u32_e64 v82, v48, s60                                // 00000000322C: D1340052 00007930
	v_mov_b32_e32 v83, 0                                       // 000000003234: 7EA60280
	s_mul_i32 s60, s84, s71                                    // 000000003238: 923C4754
	v_add_u32_e64 v84, v48, s60                                // 00000000323C: D1340054 00007930
	v_mov_b32_e32 v85, 0                                       // 000000003244: 7EAA0280
	s_mul_i32 s60, s85, s71                                    // 000000003248: 923C4755
	v_add_u32_e64 v86, v48, s60                                // 00000000324C: D1340056 00007930
	v_mov_b32_e32 v87, 0                                       // 000000003254: 7EAE0280
	s_mul_i32 s60, s86, s71                                    // 000000003258: 923C4756
	v_add_u32_e64 v88, v48, s60                                // 00000000325C: D1340058 00007930
	v_mov_b32_e32 v89, 0                                       // 000000003264: 7EB20280
	s_mul_i32 s60, s87, s71                                    // 000000003268: 923C4757
	v_add_u32_e64 v90, v48, s60                                // 00000000326C: D134005A 00007930
	v_mov_b32_e32 v91, 0                                       // 000000003274: 7EB60280
	s_mul_i32 s60, s88, s71                                    // 000000003278: 923C4758
	v_add_u32_e64 v92, v48, s60                                // 00000000327C: D134005C 00007930
	v_mov_b32_e32 v93, 0                                       // 000000003284: 7EBA0280
	s_mul_i32 s60, s89, s71                                    // 000000003288: 923C4759
	v_add_u32_e64 v94, v48, s60                                // 00000000328C: D134005E 00007930
	v_mov_b32_e32 v95, 0                                       // 000000003294: 7EBE0280
	s_mul_i32 s60, s7, 0x820                                   // 000000003298: 923CFF07 00000820
	s_add_u32 s50, 0, s60                                      // 0000000032A0: 80323C80
	s_add_u32 s51, 0x2080, s50                                 // 0000000032A4: 803332FF 00002080
	v_lshrrev_b32_e32 v48, 4, v0                               // 0000000032AC: 20600084
	v_lshlrev_b32_e32 v49, 2, v48                              // 0000000032B0: 24626082
	v_and_b32_e32 v48, 15, v0                                  // 0000000032B4: 2660008F
	v_lshrrev_b32_e32 v50, 2, v48                              // 0000000032B8: 20646082
	v_lshlrev_b32_e32 v50, 6, v50                              // 0000000032BC: 24646486
	v_add_u32_e32 v49, v50, v49                                // 0000000032C0: 68626332
	v_and_b32_e32 v48, 3, v0                                   // 0000000032C4: 26600083
	v_mul_i32_i24_e32 v50, 0x208, v48                          // 0000000032C8: 0C6460FF 00000208
	v_add_u32_e32 v49, v50, v49                                // 0000000032D0: 68626332
	v_lshlrev_b32_e32 v2, 2, v49                               // 0000000032D4: 24046282
	s_mul_i32 s60, s2, 0x140                                   // 0000000032D8: 923CFF02 00000140
	s_mul_i32 s60, s60, s69                                    // 0000000032E0: 923C453C
	s_mul_i32 s61, s5, s72                                     // 0000000032E4: 923D4805
	s_add_u32 s60, s61, s60                                    // 0000000032E8: 803C3C3D
	s_add_u32 s24, s60, s24                                    // 0000000032EC: 8018183C
	s_addc_u32 s25, 0, s25                                     // 0000000032F0: 82191980
	s_mul_i32 s60, s7, 16                                      // 0000000032F4: 923C9007
	s_mul_i32 s60, s60, s69                                    // 0000000032F8: 923C453C
	v_lshlrev_b32_e32 v34, 4, v0                               // 0000000032FC: 24440084
	v_add_u32_e32 v34, s60, v34                                // 000000003300: 6844443C
	s_mul_i32 s60, 64, s69                                     // 000000003304: 923C45C0
	v_add_u32_e32 v35, s60, v34                                // 000000003308: 6846443C
	v_add_u32_e32 v36, s60, v35                                // 00000000330C: 6848463C
	v_add_u32_e32 v37, s60, v36                                // 000000003310: 684A483C
	v_add_u32_e32 v38, s60, v37                                // 000000003314: 684C4A3C
	s_mul_i32 s60, s2, 0x1400                                  // 000000003318: 923CFF02 00001400
	s_mul_i32 s61, s5, s73                                     // 000000003320: 923D4905
	s_add_u32 s60, s61, s60                                    // 000000003324: 803C3C3D
	s_add_u32 s12, s60, s12                                    // 000000003328: 800C0C3C
	s_addc_u32 s13, 0, s13                                     // 00000000332C: 820D0D80
	s_mul_i32 s60, s7, 16                                      // 000000003330: 923C9007
	s_mul_i32 s60, s60, s70                                    // 000000003334: 923C463C
	v_lshlrev_b32_e32 v39, 4, v0                               // 000000003338: 244E0084
	v_add_u32_e32 v39, s60, v39                                // 00000000333C: 684E4E3C
	s_mul_i32 s60, 64, s70                                     // 000000003340: 923C46C0
	v_add_u32_e32 v40, s60, v39                                // 000000003344: 68504E3C
	v_add_u32_e32 v41, s60, v40                                // 000000003348: 6852503C
	v_add_u32_e32 v42, s60, v41                                // 00000000334C: 6854523C
	s_mul_i32 s60, s3, 32                                      // 000000003350: 923CA003
	s_mul_i32 s60, 4, s60                                      // 000000003354: 923C3C84
	s_add_u32 s40, s60, s40                                    // 000000003358: 8028283C
	s_addc_u32 s41, 0, s41                                     // 00000000335C: 82292980
	v_and_b32_e32 v48, 15, v0                                  // 000000003360: 2660008F
	v_lshlrev_b32_e32 v8, 2, v48                               // 000000003364: 24106082
	v_add_u32_e32 v9, 64, v8                                   // 000000003368: 681210C0
	v_lshrrev_b32_e32 v48, 4, v0                               // 00000000336C: 20600084
	v_lshlrev_b32_e32 v49, 2, v48                              // 000000003370: 24626082
	v_and_b32_e32 v48, 15, v0                                  // 000000003374: 2660008F
	v_lshrrev_b32_e32 v50, 2, v48                              // 000000003378: 20646082
	v_lshlrev_b32_e32 v50, 6, v50                              // 00000000337C: 24646486
	v_add_u32_e32 v49, v50, v49                                // 000000003380: 68626332
	v_and_b32_e32 v48, 3, v0                                   // 000000003384: 26600083
	v_add_u32_e32 v49, v48, v49                                // 000000003388: 68626330
	v_lshlrev_b32_e32 v10, 2, v49                              // 00000000338C: 24146282
	v_add_u32_e32 v11, 0x400, v10                              // 000000003390: 681614FF 00000400
	s_mul_i32 s60, s7, 16                                      // 000000003398: 923C9007
	s_mul_i32 s60, s60, 4                                      // 00000000339C: 923C843C
	v_add_u32_e32 v10, s60, v10                                // 0000000033A0: 6814143C
	v_add_u32_e32 v11, s60, v11                                // 0000000033A4: 6816163C
	v_mov_b32_e32 v5, v10                                      // 0000000033A8: 7E0A030A
	s_mul_i32 s60, s2, 0x140                                   // 0000000033AC: 923CFF02 00000140
	s_mul_i32 s60, s60, 4                                      // 0000000033B4: 923C843C
	s_mul_i32 s61, s5, s74                                     // 0000000033B8: 923D4A05
	s_add_u32 s61, s61, s60                                    // 0000000033BC: 803D3C3D
	s_mul_i32 s62, s5, s76                                     // 0000000033C0: 923E4C05
	s_add_u32 s62, s62, s60                                    // 0000000033C4: 803E3C3E
	s_add_u32 s32, s61, s32                                    // 0000000033C8: 8020203D
	s_addc_u32 s33, 0, s33                                     // 0000000033CC: 82212180
	s_add_u32 s36, s62, s36                                    // 0000000033D0: 8024243E
	s_addc_u32 s37, 0, s37                                     // 0000000033D4: 82252580
	s_mul_i32 s60, s5, s75                                     // 0000000033D8: 923C4B05
	s_add_u32 s16, s60, s16                                    // 0000000033DC: 8010103C
	s_addc_u32 s17, 0, s17                                     // 0000000033E0: 82111180
	s_mov_b32 s57, 0x100                                       // 0000000033E4: BEB900FF 00000100
	s_mov_b32 s58, 0x1000                                      // 0000000033EC: BEBA00FF 00001000
	s_mov_b32 s79, 0x400                                       // 0000000033F4: BECF00FF 00000400
	s_mov_b32 s59, 0x200                                       // 0000000033FC: BEBB00FF 00000200
	s_mul_i32 s60, s70, 0x100                                  // 000000003404: 923CFF46 00000100
	s_mov_b32 s78, 0x400                                       // 00000000340C: BECE00FF 00000400
	s_mul_i32 s61, s78, 4                                      // 000000003414: 923D844E
	s_sub_u32 s56, s60, s61                                    // 000000003418: 80B83D3C
	s_mov_b32 s52, 0x7060302                                   // 00000000341C: BEB400FF 07060302
	s_mov_b32 s53, 0x400                                       // 000000003424: BEB500FF 00000400
	s_mov_b32 s54, 0x40100                                     // 00000000342C: BEB600FF 00040100
	s_mov_b32 s55, 0x4020100                                   // 000000003434: BEB700FF 04020100
	s_mov_b32 s6, 0x3fb8aa3b                                   // 00000000343C: BE8600FF 3FB8AA3B
	s_mov_b32 s77, 0xbd92220c                                  // 000000003444: BECD00FF BD92220C
	s_mov_b32 m0, s50                                          // 00000000344C: BEFC0032
	v_mov_b32_e32 v1, 0xbfcc4231                               // 000000003450: 7E0202FF BFCC4231
	v_mov_b32_e32 v44, 0xffff0000                              // 000000003458: 7E5802FF FFFF0000
	v_mov_b32_e32 v45, 0x7fff0000                              // 000000003460: 7E5A02FF 7FFF0000
	v_mov_b32_e32 v46, 0x7fff                                  // 000000003468: 7E5C02FF 00007FFF
	s_waitcnt vmcnt(0) expcnt(0) lgkmcnt(0)                    // 000000003470: BF8C0000
	v_lshrrev_b32_e32 v48, 24, v6                              // 000000003474: 20600C98
	v_mul_i32_i24_e32 v48, s66, v48                            // 000000003478: 0C606042
	v_and_b32_e32 v49, 0xffffff, v6                            // 00000000347C: 26620CFF 00FFFFFF
	v_add_u32_e32 v6, v48, v49                                 // 000000003484: 680C6330
	v_lshrrev_b32_e32 v48, 24, v7                              // 000000003488: 20600E98
	v_mul_i32_i24_e32 v48, s66, v48                            // 00000000348C: 0C606042
	v_and_b32_e32 v49, 0xffffff, v7                            // 000000003490: 26620EFF 00FFFFFF
	v_add_u32_e32 v7, v48, v49                                 // 000000003498: 680E6330
	v_lshlrev_b32_e32 v6, 2, v6                                // 00000000349C: 240C0C82
	v_lshlrev_b32_e32 v7, 2, v7                                // 0000000034A0: 240E0E82
	buffer_load_dword v14, v6, s[28:31], 0 offen               // 0000000034A4: E0501000 80070E06
	buffer_load_dword v15, v7, s[28:31], 0 offen               // 0000000034AC: E0501000 80070F07
	buffer_load_dword v16, v10, s[32:35], 0 offen              // 0000000034B4: E0501000 8008100A
	buffer_load_dword v17, v11, s[32:35], 0 offen              // 0000000034BC: E0501000 8008110B
	buffer_load_dword v18, v10, s[36:39], 0 offen              // 0000000034C4: E0501000 8009120A
	buffer_load_dword v19, v11, s[36:39], 0 offen              // 0000000034CC: E0501000 8009130B
	buffer_load_dword v20, v8, s[40:43], 0 offen               // 0000000034D4: E0501000 800A1408
	buffer_load_dword v21, v9, s[40:43], 0 offen               // 0000000034DC: E0501000 800A1509
	buffer_load_dword v26, s[20:23], 0 offen lds               // 0000000034E4: E0511000 8005001A
	s_add_u32 m0, 0x100, s50                                   // 0000000034EC: 807C32FF 00000100
	buffer_load_dword v27, s[20:23], 0 offen lds               // 0000000034F4: E0511000 8005001B
	s_add_u32 m0, 0x200, s50                                   // 0000000034FC: 807C32FF 00000200
	buffer_load_dword v28, s[20:23], 0 offen lds               // 000000003504: E0511000 8005001C
	s_add_u32 m0, 0x300, s50                                   // 00000000350C: 807C32FF 00000300
	buffer_load_dword v29, s[20:23], 0 offen lds               // 000000003514: E0511000 8005001D
	s_add_u32 m0, 0x400, s50                                   // 00000000351C: 807C32FF 00000400
	buffer_load_dword v30, s[20:23], 0 offen lds               // 000000003524: E0511000 8005001E
	s_add_u32 m0, 0x500, s50                                   // 00000000352C: 807C32FF 00000500
	buffer_load_dword v31, s[20:23], 0 offen lds               // 000000003534: E0511000 8005001F
	s_add_u32 m0, 0x600, s50                                   // 00000000353C: 807C32FF 00000600
	buffer_load_dword v32, s[20:23], 0 offen lds               // 000000003544: E0511000 80050020
	s_add_u32 m0, 0x700, s50                                   // 00000000354C: 807C32FF 00000700
	buffer_load_dword v33, s[20:23], 0 offen lds               // 000000003554: E0511000 80050021
	s_add_u32 m0, 0, s51                                       // 00000000355C: 807C3380
	s_add_u32 s20, s57, s20                                    // 000000003560: 80141439
	s_addc_u32 s21, 0, s21                                     // 000000003564: 82151580
	buffer_load_dword v26, s[20:23], 0 offen lds               // 000000003568: E0511000 8005001A
	s_add_u32 m0, 0x100, s51                                   // 000000003570: 807C33FF 00000100
	buffer_load_dword v27, s[20:23], 0 offen lds               // 000000003578: E0511000 8005001B
	s_add_u32 m0, 0x200, s51                                   // 000000003580: 807C33FF 00000200
	buffer_load_dword v28, s[20:23], 0 offen lds               // 000000003588: E0511000 8005001C
	s_add_u32 m0, 0x300, s51                                   // 000000003590: 807C33FF 00000300
	buffer_load_dword v29, s[20:23], 0 offen lds               // 000000003598: E0511000 8005001D
	s_add_u32 m0, 0x400, s51                                   // 0000000035A0: 807C33FF 00000400
	buffer_load_dword v30, s[20:23], 0 offen lds               // 0000000035A8: E0511000 8005001E
	s_add_u32 m0, 0x500, s51                                   // 0000000035B0: 807C33FF 00000500
	buffer_load_dword v31, s[20:23], 0 offen lds               // 0000000035B8: E0511000 8005001F
	s_add_u32 m0, 0x600, s51                                   // 0000000035C0: 807C33FF 00000600
	buffer_load_dword v32, s[20:23], 0 offen lds               // 0000000035C8: E0511000 80050020
	s_add_u32 m0, 0x700, s51                                   // 0000000035D0: 807C33FF 00000700
	buffer_load_dword v33, s[20:23], 0 offen lds               // 0000000035D8: E0511000 80050021
	s_add_u32 m0, 0, s50                                       // 0000000035E0: 807C3280
	s_add_u32 s20, s57, s20                                    // 0000000035E4: 80141439
	s_addc_u32 s21, 0, s21                                     // 0000000035E8: 82151580
	buffer_load_dwordx4 a[0:3], v34, s[24:27], 0 offen         // 0000000035EC: E05C1000 80860022
	buffer_load_dwordx4 a[4:7], v34, s[24:27], 0 offen offset:1024// 0000000035F4: E05C1400 80860422
	buffer_load_dwordx4 a[8:11], v34, s[24:27], 0 offen offset:2048// 0000000035FC: E05C1800 80860822
	buffer_load_dwordx4 a[12:15], v34, s[24:27], 0 offen offset:3072// 000000003604: E05C1C00 80860C22
	buffer_load_dwordx4 a[16:19], v35, s[24:27], 0 offen       // 00000000360C: E05C1000 80861023
	buffer_load_dwordx4 a[20:23], v35, s[24:27], 0 offen offset:1024// 000000003614: E05C1400 80861423
	buffer_load_dwordx4 a[24:27], v35, s[24:27], 0 offen offset:2048// 00000000361C: E05C1800 80861823
	buffer_load_dwordx4 a[28:31], v35, s[24:27], 0 offen offset:3072// 000000003624: E05C1C00 80861C23
	buffer_load_dwordx4 a[32:35], v36, s[24:27], 0 offen       // 00000000362C: E05C1000 80862024
	buffer_load_dwordx4 a[36:39], v36, s[24:27], 0 offen offset:1024// 000000003634: E05C1400 80862424
	buffer_load_dwordx4 a[40:43], v36, s[24:27], 0 offen offset:2048// 00000000363C: E05C1800 80862824
	buffer_load_dwordx4 a[44:47], v36, s[24:27], 0 offen offset:3072// 000000003644: E05C1C00 80862C24
	buffer_load_dwordx4 a[48:51], v37, s[24:27], 0 offen       // 00000000364C: E05C1000 80863025
	buffer_load_dwordx4 a[52:55], v37, s[24:27], 0 offen offset:1024// 000000003654: E05C1400 80863425
	buffer_load_dwordx4 a[56:59], v37, s[24:27], 0 offen offset:2048// 00000000365C: E05C1800 80863825
	buffer_load_dwordx4 a[60:63], v37, s[24:27], 0 offen offset:3072// 000000003664: E05C1C00 80863C25
	buffer_load_dwordx4 a[64:67], v38, s[24:27], 0 offen       // 00000000366C: E05C1000 80864026
	buffer_load_dwordx4 a[68:71], v38, s[24:27], 0 offen offset:1024// 000000003674: E05C1400 80864426
	buffer_load_dwordx4 a[72:75], v38, s[24:27], 0 offen offset:2048// 00000000367C: E05C1800 80864826
	buffer_load_dwordx4 a[76:79], v38, s[24:27], 0 offen offset:3072// 000000003684: E05C1C00 80864C26
	s_add_u32 s24, s58, s24                                    // 00000000368C: 8018183A
	s_addc_u32 s25, 0, s25                                     // 000000003690: 82191980
	v_mov_b32_e32 v128, 0                                      // 000000003694: 7F000280
	v_mov_b32_e32 v129, 0                                      // 000000003698: 7F020280
	v_mov_b32_e32 v130, 0                                      // 00000000369C: 7F040280
	v_mov_b32_e32 v131, 0                                      // 0000000036A0: 7F060280
	v_mov_b32_e32 v132, 0                                      // 0000000036A4: 7F080280
	v_mov_b32_e32 v133, 0                                      // 0000000036A8: 7F0A0280
	v_mov_b32_e32 v134, 0                                      // 0000000036AC: 7F0C0280
	v_mov_b32_e32 v135, 0                                      // 0000000036B0: 7F0E0280
	v_mov_b32_e32 v136, 0                                      // 0000000036B4: 7F100280
	v_mov_b32_e32 v137, 0                                      // 0000000036B8: 7F120280
	v_mov_b32_e32 v138, 0                                      // 0000000036BC: 7F140280
	v_mov_b32_e32 v139, 0                                      // 0000000036C0: 7F160280
	v_mov_b32_e32 v140, 0                                      // 0000000036C4: 7F180280
	v_mov_b32_e32 v141, 0                                      // 0000000036C8: 7F1A0280
	v_mov_b32_e32 v142, 0                                      // 0000000036CC: 7F1C0280
	v_mov_b32_e32 v143, 0                                      // 0000000036D0: 7F1E0280
	v_mov_b32_e32 v144, 0                                      // 0000000036D4: 7F200280
	v_mov_b32_e32 v145, 0                                      // 0000000036D8: 7F220280
	v_mov_b32_e32 v146, 0                                      // 0000000036DC: 7F240280
	v_mov_b32_e32 v147, 0                                      // 0000000036E0: 7F260280
	v_mov_b32_e32 v148, 0                                      // 0000000036E4: 7F280280
	v_mov_b32_e32 v149, 0                                      // 0000000036E8: 7F2A0280
	v_mov_b32_e32 v150, 0                                      // 0000000036EC: 7F2C0280
	v_mov_b32_e32 v151, 0                                      // 0000000036F0: 7F2E0280
	v_mov_b32_e32 v152, 0                                      // 0000000036F4: 7F300280
	v_mov_b32_e32 v153, 0                                      // 0000000036F8: 7F320280
	v_mov_b32_e32 v154, 0                                      // 0000000036FC: 7F340280
	v_mov_b32_e32 v155, 0                                      // 000000003700: 7F360280
	v_mov_b32_e32 v156, 0                                      // 000000003704: 7F380280
	v_mov_b32_e32 v157, 0                                      // 000000003708: 7F3A0280
	v_mov_b32_e32 v158, 0                                      // 00000000370C: 7F3C0280
	v_mov_b32_e32 v159, 0                                      // 000000003710: 7F3E0280
	v_mov_b32_e32 v160, 0                                      // 000000003714: 7F400280
	v_mov_b32_e32 v161, 0                                      // 000000003718: 7F420280
	v_mov_b32_e32 v162, 0                                      // 00000000371C: 7F440280
	v_mov_b32_e32 v163, 0                                      // 000000003720: 7F460280
	v_mov_b32_e32 v164, 0                                      // 000000003724: 7F480280
	v_mov_b32_e32 v165, 0                                      // 000000003728: 7F4A0280
	v_mov_b32_e32 v166, 0                                      // 00000000372C: 7F4C0280
	v_mov_b32_e32 v167, 0                                      // 000000003730: 7F4E0280
	v_lshrrev_b32_e32 v48, 4, v0                               // 000000003734: 20600084
	v_mul_i32_i24_e32 v3, 34, v48                              // 000000003738: 0C0660A2
	v_and_b32_e32 v48, 15, v0                                  // 00000000373C: 2660008F
	v_mul_i32_i24_e32 v49, 2, v48                              // 000000003740: 0C626082
	v_add_u32_e32 v3, v49, v3                                  // 000000003744: 68060731
	s_mul_i32 s60, s7, 0x88                                    // 000000003748: 923CFF07 00000088
	v_add_u32_e32 v3, s60, v3                                  // 000000003750: 6806063C
	v_lshlrev_b32_e32 v3, 2, v3                                // 000000003754: 24060682
	v_lshrrev_b32_e32 v48, 1, v0                               // 000000003758: 20600081
	v_mul_i32_i24_e32 v4, 34, v48                              // 00000000375C: 0C0860A2
	v_and_b32_e32 v49, 1, v0                                   // 000000003760: 26620081
	v_add_u32_e32 v4, v49, v4                                  // 000000003764: 68080931
	s_mul_i32 s60, s7, 2                                       // 000000003768: 923C8207
	v_add_u32_e32 v4, s60, v4                                  // 00000000376C: 6808083C
	v_lshlrev_b32_e32 v4, 2, v4                                // 000000003770: 24080882
	s_waitcnt vmcnt(28)                                        // 000000003774: BF8C4F7C
	s_barrier                                                  // 000000003778: BF8A0000
	ds_read_b128 v[168:171], v2                                // 00000000377C: D9FE0000 A8000002
	ds_read_b128 v[172:175], v2 offset:64                      // 000000003784: D9FE0040 AC000002
	ds_read_b128 v[176:179], v2 offset:128                     // 00000000378C: D9FE0080 B0000002
	ds_read_b128 v[180:183], v2 offset:192                     // 000000003794: D9FE00C0 B4000002
	ds_read_b128 v[184:187], v2 offset:1024                    // 00000000379C: D9FE0400 B8000002
	ds_read_b128 v[188:191], v2 offset:1088                    // 0000000037A4: D9FE0440 BC000002
	ds_read_b128 v[192:195], v2 offset:1152                    // 0000000037AC: D9FE0480 C0000002
	ds_read_b128 v[196:199], v2 offset:1216                    // 0000000037B4: D9FE04C0 C4000002
	s_cmp_lt_i32 s7, 2                                         // 0000000037BC: BF048207
	s_cbranch_scc0 label_0E94                                  // 0000000037C0: BF840C23

00000000000037c4 <label_0271>:
	s_waitcnt vmcnt(12) lgkmcnt(0)                             // 0000000037C4: BF8C007C
	s_barrier                                                  // 0000000037C8: BF8A0000
	v_mfma_i32_16x16x32_i8 v[128:131], a[0:1], v[168:169], v[128:131]// 0000000037CC: D3D70080 0E035100
	v_mfma_i32_16x16x32_i8 v[128:131], a[2:3], v[170:171], v[128:131]// 0000000037D4: D3D70080 0E035502
	buffer_load_dwordx4 a[80:83], v34, s[24:27], 0 offen       // 0000000037DC: E05C1000 80865022
	v_mfma_i32_16x16x32_i8 v[128:131], a[4:5], v[172:173], v[128:131]// 0000000037E4: D3D70080 0E035904
	v_mfma_i32_16x16x32_i8 v[128:131], a[6:7], v[174:175], v[128:131]// 0000000037EC: D3D70080 0E035D06
	buffer_load_dword v26, s[20:23], 0 offen lds               // 0000000037F4: E0511000 8005001A
	s_add_u32 m0, 0x100, s50                                   // 0000000037FC: 807C32FF 00000100
	v_mfma_i32_16x16x32_i8 v[128:131], a[8:9], v[176:177], v[128:131]// 000000003804: D3D70080 0E036108
	v_mfma_i32_16x16x32_i8 v[128:131], a[10:11], v[178:179], v[128:131]// 00000000380C: D3D70080 0E03650A
	buffer_load_dwordx4 a[84:87], v34, s[24:27], 0 offen offset:1024// 000000003814: E05C1400 80865422
	v_mfma_i32_16x16x32_i8 v[128:131], a[12:13], v[180:181], v[128:131]// 00000000381C: D3D70080 0E03690C
	v_mfma_i32_16x16x32_i8 v[128:131], a[14:15], v[182:183], v[128:131]// 000000003824: D3D70080 0E036D0E
	buffer_load_dword v27, s[20:23], 0 offen lds               // 00000000382C: E0511000 8005001B
	s_add_u32 m0, 0x200, s50                                   // 000000003834: 807C32FF 00000200
	v_mfma_i32_16x16x32_i8 v[132:135], a[0:1], v[184:185], v[132:135]// 00000000383C: D3D70084 0E137100
	v_mfma_i32_16x16x32_i8 v[132:135], a[2:3], v[186:187], v[132:135]// 000000003844: D3D70084 0E137502
	buffer_load_dwordx4 a[88:91], v34, s[24:27], 0 offen offset:2048// 00000000384C: E05C1800 80865822
	v_mfma_i32_16x16x32_i8 v[132:135], a[4:5], v[188:189], v[132:135]// 000000003854: D3D70084 0E137904
	v_mfma_i32_16x16x32_i8 v[132:135], a[6:7], v[190:191], v[132:135]// 00000000385C: D3D70084 0E137D06
	buffer_load_dword v28, s[20:23], 0 offen lds               // 000000003864: E0511000 8005001C
	s_add_u32 m0, 0x300, s50                                   // 00000000386C: 807C32FF 00000300
	v_mfma_i32_16x16x32_i8 v[132:135], a[8:9], v[192:193], v[132:135]// 000000003874: D3D70084 0E138108
	v_mfma_i32_16x16x32_i8 v[132:135], a[10:11], v[194:195], v[132:135]// 00000000387C: D3D70084 0E13850A
	buffer_load_dwordx4 a[92:95], v34, s[24:27], 0 offen offset:3072// 000000003884: E05C1C00 80865C22
	v_mfma_i32_16x16x32_i8 v[132:135], a[12:13], v[196:197], v[132:135]// 00000000388C: D3D70084 0E13890C
	v_mfma_i32_16x16x32_i8 v[132:135], a[14:15], v[198:199], v[132:135]// 000000003894: D3D70084 0E138D0E
	buffer_load_dword v29, s[20:23], 0 offen lds               // 00000000389C: E0511000 8005001D
	s_add_u32 m0, 0x400, s50                                   // 0000000038A4: 807C32FF 00000400
	v_mfma_i32_16x16x32_i8 v[136:139], a[16:17], v[168:169], v[136:139]// 0000000038AC: D3D70088 0E235110
	v_mfma_i32_16x16x32_i8 v[136:139], a[18:19], v[170:171], v[136:139]// 0000000038B4: D3D70088 0E235512
	buffer_load_dwordx4 a[96:99], v35, s[24:27], 0 offen       // 0000000038BC: E05C1000 80866023
	v_mfma_i32_16x16x32_i8 v[136:139], a[20:21], v[172:173], v[136:139]// 0000000038C4: D3D70088 0E235914
	v_mfma_i32_16x16x32_i8 v[136:139], a[22:23], v[174:175], v[136:139]// 0000000038CC: D3D70088 0E235D16
	buffer_load_dword v30, s[20:23], 0 offen lds               // 0000000038D4: E0511000 8005001E
	s_add_u32 m0, 0x500, s50                                   // 0000000038DC: 807C32FF 00000500
	v_mfma_i32_16x16x32_i8 v[136:139], a[24:25], v[176:177], v[136:139]// 0000000038E4: D3D70088 0E236118
	v_mfma_i32_16x16x32_i8 v[136:139], a[26:27], v[178:179], v[136:139]// 0000000038EC: D3D70088 0E23651A
	buffer_load_dwordx4 a[100:103], v35, s[24:27], 0 offen offset:1024// 0000000038F4: E05C1400 80866423
	v_mfma_i32_16x16x32_i8 v[136:139], a[28:29], v[180:181], v[136:139]// 0000000038FC: D3D70088 0E23691C
	v_mfma_i32_16x16x32_i8 v[136:139], a[30:31], v[182:183], v[136:139]// 000000003904: D3D70088 0E236D1E
	buffer_load_dword v31, s[20:23], 0 offen lds               // 00000000390C: E0511000 8005001F
	s_add_u32 m0, 0x600, s50                                   // 000000003914: 807C32FF 00000600
	v_mfma_i32_16x16x32_i8 v[140:143], a[16:17], v[184:185], v[140:143]// 00000000391C: D3D7008C 0E337110
	v_mfma_i32_16x16x32_i8 v[140:143], a[18:19], v[186:187], v[140:143]// 000000003924: D3D7008C 0E337512
	buffer_load_dwordx4 a[104:107], v35, s[24:27], 0 offen offset:2048// 00000000392C: E05C1800 80866823
	v_mfma_i32_16x16x32_i8 v[140:143], a[20:21], v[188:189], v[140:143]// 000000003934: D3D7008C 0E337914
	v_mfma_i32_16x16x32_i8 v[140:143], a[22:23], v[190:191], v[140:143]// 00000000393C: D3D7008C 0E337D16
	buffer_load_dword v32, s[20:23], 0 offen lds               // 000000003944: E0511000 80050020
	s_add_u32 m0, 0x700, s50                                   // 00000000394C: 807C32FF 00000700
	v_mfma_i32_16x16x32_i8 v[140:143], a[24:25], v[192:193], v[140:143]// 000000003954: D3D7008C 0E338118
	v_mfma_i32_16x16x32_i8 v[140:143], a[26:27], v[194:195], v[140:143]// 00000000395C: D3D7008C 0E33851A
	buffer_load_dwordx4 a[108:111], v35, s[24:27], 0 offen offset:3072// 000000003964: E05C1C00 80866C23
	v_mfma_i32_16x16x32_i8 v[140:143], a[28:29], v[196:197], v[140:143]// 00000000396C: D3D7008C 0E33891C
	v_mfma_i32_16x16x32_i8 v[140:143], a[30:31], v[198:199], v[140:143]// 000000003974: D3D7008C 0E338D1E
	buffer_load_dword v33, s[20:23], 0 offen lds               // 00000000397C: E0511000 80050021
	s_add_u32 m0, 0, s51                                       // 000000003984: 807C3380
	s_waitcnt vmcnt(24)                                        // 000000003988: BF8C4F78
	v_mfma_i32_16x16x32_i8 v[144:147], a[32:33], v[168:169], v[144:147]// 00000000398C: D3D70090 0E435120
	v_mfma_i32_16x16x32_i8 v[144:147], a[34:35], v[170:171], v[144:147]// 000000003994: D3D70090 0E435522
	buffer_load_dwordx4 a[112:115], v36, s[24:27], 0 offen     // 00000000399C: E05C1000 80867024
	v_mfma_i32_16x16x32_i8 v[144:147], a[36:37], v[172:173], v[144:147]// 0000000039A4: D3D70090 0E435924
	v_mfma_i32_16x16x32_i8 v[144:147], a[38:39], v[174:175], v[144:147]// 0000000039AC: D3D70090 0E435D26
	ds_read_b128 v[200:203], v2 offset:8320                    // 0000000039B4: D9FE2080 C8000002
	v_mfma_i32_16x16x32_i8 v[144:147], a[40:41], v[176:177], v[144:147]// 0000000039BC: D3D70090 0E436128
	v_mfma_i32_16x16x32_i8 v[144:147], a[42:43], v[178:179], v[144:147]// 0000000039C4: D3D70090 0E43652A
	buffer_load_dwordx4 a[116:119], v36, s[24:27], 0 offen offset:1024// 0000000039CC: E05C1400 80867424
	v_mfma_i32_16x16x32_i8 v[144:147], a[44:45], v[180:181], v[144:147]// 0000000039D4: D3D70090 0E43692C
	v_mfma_i32_16x16x32_i8 v[144:147], a[46:47], v[182:183], v[144:147]// 0000000039DC: D3D70090 0E436D2E
	ds_read_b128 v[204:207], v2 offset:8384                    // 0000000039E4: D9FE20C0 CC000002
	v_mfma_i32_16x16x32_i8 v[148:151], a[32:33], v[184:185], v[148:151]// 0000000039EC: D3D70094 0E537120
	v_mfma_i32_16x16x32_i8 v[148:151], a[34:35], v[186:187], v[148:151]// 0000000039F4: D3D70094 0E537522
	buffer_load_dwordx4 a[120:123], v36, s[24:27], 0 offen offset:2048// 0000000039FC: E05C1800 80867824
	v_mfma_i32_16x16x32_i8 v[148:151], a[36:37], v[188:189], v[148:151]// 000000003A04: D3D70094 0E537924
	v_mfma_i32_16x16x32_i8 v[148:151], a[38:39], v[190:191], v[148:151]// 000000003A0C: D3D70094 0E537D26
	ds_read_b128 v[208:211], v2 offset:8448                    // 000000003A14: D9FE2100 D0000002
	v_mfma_i32_16x16x32_i8 v[148:151], a[40:41], v[192:193], v[148:151]// 000000003A1C: D3D70094 0E538128
	v_mfma_i32_16x16x32_i8 v[148:151], a[42:43], v[194:195], v[148:151]// 000000003A24: D3D70094 0E53852A
	buffer_load_dwordx4 a[124:127], v36, s[24:27], 0 offen offset:3072// 000000003A2C: E05C1C00 80867C24
	v_mfma_i32_16x16x32_i8 v[148:151], a[44:45], v[196:197], v[148:151]// 000000003A34: D3D70094 0E53892C
	v_mfma_i32_16x16x32_i8 v[148:151], a[46:47], v[198:199], v[148:151]// 000000003A3C: D3D70094 0E538D2E
	ds_read_b128 v[212:215], v2 offset:8512                    // 000000003A44: D9FE2140 D4000002
	s_waitcnt vmcnt(24)                                        // 000000003A4C: BF8C4F78
	v_mfma_i32_16x16x32_i8 v[152:155], a[48:49], v[168:169], v[152:155]// 000000003A50: D3D70098 0E635130
	v_mfma_i32_16x16x32_i8 v[152:155], a[50:51], v[170:171], v[152:155]// 000000003A58: D3D70098 0E635532
	buffer_load_dwordx4 a[128:131], v37, s[24:27], 0 offen     // 000000003A60: E05C1000 80868025
	v_mfma_i32_16x16x32_i8 v[152:155], a[52:53], v[172:173], v[152:155]// 000000003A68: D3D70098 0E635934
	v_mfma_i32_16x16x32_i8 v[152:155], a[54:55], v[174:175], v[152:155]// 000000003A70: D3D70098 0E635D36
	ds_read_b128 v[216:219], v2 offset:9344                    // 000000003A78: D9FE2480 D8000002
	v_mfma_i32_16x16x32_i8 v[152:155], a[56:57], v[176:177], v[152:155]// 000000003A80: D3D70098 0E636138
	v_mfma_i32_16x16x32_i8 v[152:155], a[58:59], v[178:179], v[152:155]// 000000003A88: D3D70098 0E63653A
	buffer_load_dwordx4 a[132:135], v37, s[24:27], 0 offen offset:1024// 000000003A90: E05C1400 80868425
	v_mfma_i32_16x16x32_i8 v[152:155], a[60:61], v[180:181], v[152:155]// 000000003A98: D3D70098 0E63693C
	v_mfma_i32_16x16x32_i8 v[152:155], a[62:63], v[182:183], v[152:155]// 000000003AA0: D3D70098 0E636D3E
	ds_read_b128 v[220:223], v2 offset:9408                    // 000000003AA8: D9FE24C0 DC000002
	v_mfma_i32_16x16x32_i8 v[156:159], a[48:49], v[184:185], v[156:159]// 000000003AB0: D3D7009C 0E737130
	v_mfma_i32_16x16x32_i8 v[156:159], a[50:51], v[186:187], v[156:159]// 000000003AB8: D3D7009C 0E737532
	buffer_load_dwordx4 a[136:139], v37, s[24:27], 0 offen offset:2048// 000000003AC0: E05C1800 80868825
	v_mfma_i32_16x16x32_i8 v[156:159], a[52:53], v[188:189], v[156:159]// 000000003AC8: D3D7009C 0E737934
	v_mfma_i32_16x16x32_i8 v[156:159], a[54:55], v[190:191], v[156:159]// 000000003AD0: D3D7009C 0E737D36
	ds_read_b128 v[224:227], v2 offset:9472                    // 000000003AD8: D9FE2500 E0000002
	v_mfma_i32_16x16x32_i8 v[156:159], a[56:57], v[192:193], v[156:159]// 000000003AE0: D3D7009C 0E738138
	v_mfma_i32_16x16x32_i8 v[156:159], a[58:59], v[194:195], v[156:159]// 000000003AE8: D3D7009C 0E73853A
	buffer_load_dwordx4 a[140:143], v37, s[24:27], 0 offen offset:3072// 000000003AF0: E05C1C00 80868C25
	v_mfma_i32_16x16x32_i8 v[156:159], a[60:61], v[196:197], v[156:159]// 000000003AF8: D3D7009C 0E73893C
	v_mfma_i32_16x16x32_i8 v[156:159], a[62:63], v[198:199], v[156:159]// 000000003B00: D3D7009C 0E738D3E
	ds_read_b128 v[228:231], v2 offset:9536                    // 000000003B08: D9FE2540 E4000002
	s_waitcnt vmcnt(24)                                        // 000000003B10: BF8C4F78
	v_mfma_i32_16x16x32_i8 v[160:163], a[64:65], v[168:169], v[160:163]// 000000003B14: D3D700A0 0E835140
	v_mfma_i32_16x16x32_i8 v[160:163], a[66:67], v[170:171], v[160:163]// 000000003B1C: D3D700A0 0E835542
	buffer_load_dwordx4 a[144:147], v38, s[24:27], 0 offen     // 000000003B24: E05C1000 80869026
	v_mfma_i32_16x16x32_i8 v[160:163], a[68:69], v[172:173], v[160:163]// 000000003B2C: D3D700A0 0E835944
	v_mfma_i32_16x16x32_i8 v[160:163], a[70:71], v[174:175], v[160:163]// 000000003B34: D3D700A0 0E835D46
	v_mfma_i32_16x16x32_i8 v[160:163], a[72:73], v[176:177], v[160:163]// 000000003B3C: D3D700A0 0E836148
	v_mfma_i32_16x16x32_i8 v[160:163], a[74:75], v[178:179], v[160:163]// 000000003B44: D3D700A0 0E83654A
	buffer_load_dwordx4 a[148:151], v38, s[24:27], 0 offen offset:1024// 000000003B4C: E05C1400 80869426
	v_mfma_i32_16x16x32_i8 v[160:163], a[76:77], v[180:181], v[160:163]// 000000003B54: D3D700A0 0E83694C
	v_mfma_i32_16x16x32_i8 v[160:163], a[78:79], v[182:183], v[160:163]// 000000003B5C: D3D700A0 0E836D4E
	v_mfma_i32_16x16x32_i8 v[164:167], a[64:65], v[184:185], v[164:167]// 000000003B64: D3D700A4 0E937140
	v_mfma_i32_16x16x32_i8 v[164:167], a[66:67], v[186:187], v[164:167]// 000000003B6C: D3D700A4 0E937542
	buffer_load_dwordx4 a[152:155], v38, s[24:27], 0 offen offset:2048// 000000003B74: E05C1800 80869826
	v_mfma_i32_16x16x32_i8 v[164:167], a[68:69], v[188:189], v[164:167]// 000000003B7C: D3D700A4 0E937944
	v_mfma_i32_16x16x32_i8 v[164:167], a[70:71], v[190:191], v[164:167]// 000000003B84: D3D700A4 0E937D46
	v_mfma_i32_16x16x32_i8 v[164:167], a[72:73], v[192:193], v[164:167]// 000000003B8C: D3D700A4 0E938148
	v_mfma_i32_16x16x32_i8 v[164:167], a[74:75], v[194:195], v[164:167]// 000000003B94: D3D700A4 0E93854A
	buffer_load_dwordx4 a[156:159], v38, s[24:27], 0 offen offset:3072// 000000003B9C: E05C1C00 80869C26
	v_mfma_i32_16x16x32_i8 v[164:167], a[76:77], v[196:197], v[164:167]// 000000003BA4: D3D700A4 0E93894C
	v_mfma_i32_16x16x32_i8 v[164:167], a[78:79], v[198:199], v[164:167]// 000000003BAC: D3D700A4 0E938D4E
	s_add_u32 s60, 0x300, s80                                  // 000000003BB4: 803C50FF 00000300
	s_cmp_lt_u32 s60, s81                                      // 000000003BBC: BF0A513C
	s_cselect_b32 s57, s57, 0                                  // 000000003BC0: 85398039
	s_add_u32 s60, 0x200, s80                                  // 000000003BC4: 803C50FF 00000200
	s_cmp_lt_u32 s60, s81                                      // 000000003BCC: BF0A513C
	s_cselect_b32 s58, s58, 0                                  // 000000003BD0: 853A803A
	s_add_u32 s20, s57, s20                                    // 000000003BD4: 80141439
	s_addc_u32 s21, 0, s21                                     // 000000003BD8: 82151580
	s_add_u32 s24, s58, s24                                    // 000000003BDC: 8018183A
	s_addc_u32 s25, 0, s25                                     // 000000003BE0: 82191980
	s_addk_i32 s80, 0x100                                      // 000000003BE4: B7500100
	s_cmp_lt_i32 s80, s81                                      // 000000003BE8: BF045150
	s_cbranch_scc0 label_0488                                  // 000000003BEC: BF84010C
	s_waitcnt vmcnt(12) lgkmcnt(0)                             // 000000003BF0: BF8C007C
	s_barrier                                                  // 000000003BF4: BF8A0000
	v_mfma_i32_16x16x32_i8 v[128:131], a[80:81], v[200:201], v[128:131]// 000000003BF8: D3D70080 0E039150
	v_mfma_i32_16x16x32_i8 v[128:131], a[82:83], v[202:203], v[128:131]// 000000003C00: D3D70080 0E039552
	buffer_load_dwordx4 a[0:3], v34, s[24:27], 0 offen         // 000000003C08: E05C1000 80860022
	v_mfma_i32_16x16x32_i8 v[128:131], a[84:85], v[204:205], v[128:131]// 000000003C10: D3D70080 0E039954
	v_mfma_i32_16x16x32_i8 v[128:131], a[86:87], v[206:207], v[128:131]// 000000003C18: D3D70080 0E039D56
	buffer_load_dword v26, s[20:23], 0 offen lds               // 000000003C20: E0511000 8005001A
	s_add_u32 m0, 0x100, s51                                   // 000000003C28: 807C33FF 00000100
	v_mfma_i32_16x16x32_i8 v[128:131], a[88:89], v[208:209], v[128:131]// 000000003C30: D3D70080 0E03A158
	v_mfma_i32_16x16x32_i8 v[128:131], a[90:91], v[210:211], v[128:131]// 000000003C38: D3D70080 0E03A55A
	buffer_load_dwordx4 a[4:7], v34, s[24:27], 0 offen offset:1024// 000000003C40: E05C1400 80860422
	v_mfma_i32_16x16x32_i8 v[128:131], a[92:93], v[212:213], v[128:131]// 000000003C48: D3D70080 0E03A95C
	v_mfma_i32_16x16x32_i8 v[128:131], a[94:95], v[214:215], v[128:131]// 000000003C50: D3D70080 0E03AD5E
	buffer_load_dword v27, s[20:23], 0 offen lds               // 000000003C58: E0511000 8005001B
	s_add_u32 m0, 0x200, s51                                   // 000000003C60: 807C33FF 00000200
	v_mfma_i32_16x16x32_i8 v[132:135], a[80:81], v[216:217], v[132:135]// 000000003C68: D3D70084 0E13B150
	v_mfma_i32_16x16x32_i8 v[132:135], a[82:83], v[218:219], v[132:135]// 000000003C70: D3D70084 0E13B552
	buffer_load_dwordx4 a[8:11], v34, s[24:27], 0 offen offset:2048// 000000003C78: E05C1800 80860822
	v_mfma_i32_16x16x32_i8 v[132:135], a[84:85], v[220:221], v[132:135]// 000000003C80: D3D70084 0E13B954
	v_mfma_i32_16x16x32_i8 v[132:135], a[86:87], v[222:223], v[132:135]// 000000003C88: D3D70084 0E13BD56
	buffer_load_dword v28, s[20:23], 0 offen lds               // 000000003C90: E0511000 8005001C
	s_add_u32 m0, 0x300, s51                                   // 000000003C98: 807C33FF 00000300
	v_mfma_i32_16x16x32_i8 v[132:135], a[88:89], v[224:225], v[132:135]// 000000003CA0: D3D70084 0E13C158
	v_mfma_i32_16x16x32_i8 v[132:135], a[90:91], v[226:227], v[132:135]// 000000003CA8: D3D70084 0E13C55A
	buffer_load_dwordx4 a[12:15], v34, s[24:27], 0 offen offset:3072// 000000003CB0: E05C1C00 80860C22
	v_mfma_i32_16x16x32_i8 v[132:135], a[92:93], v[228:229], v[132:135]// 000000003CB8: D3D70084 0E13C95C
	v_mfma_i32_16x16x32_i8 v[132:135], a[94:95], v[230:231], v[132:135]// 000000003CC0: D3D70084 0E13CD5E
	buffer_load_dword v29, s[20:23], 0 offen lds               // 000000003CC8: E0511000 8005001D
	s_add_u32 m0, 0x400, s51                                   // 000000003CD0: 807C33FF 00000400
	v_mfma_i32_16x16x32_i8 v[136:139], a[96:97], v[200:201], v[136:139]// 000000003CD8: D3D70088 0E239160
	v_mfma_i32_16x16x32_i8 v[136:139], a[98:99], v[202:203], v[136:139]// 000000003CE0: D3D70088 0E239562
	buffer_load_dwordx4 a[16:19], v35, s[24:27], 0 offen       // 000000003CE8: E05C1000 80861023
	v_mfma_i32_16x16x32_i8 v[136:139], a[100:101], v[204:205], v[136:139]// 000000003CF0: D3D70088 0E239964
	v_mfma_i32_16x16x32_i8 v[136:139], a[102:103], v[206:207], v[136:139]// 000000003CF8: D3D70088 0E239D66
	buffer_load_dword v30, s[20:23], 0 offen lds               // 000000003D00: E0511000 8005001E
	s_add_u32 m0, 0x500, s51                                   // 000000003D08: 807C33FF 00000500
	v_mfma_i32_16x16x32_i8 v[136:139], a[104:105], v[208:209], v[136:139]// 000000003D10: D3D70088 0E23A168
	v_mfma_i32_16x16x32_i8 v[136:139], a[106:107], v[210:211], v[136:139]// 000000003D18: D3D70088 0E23A56A
	buffer_load_dwordx4 a[20:23], v35, s[24:27], 0 offen offset:1024// 000000003D20: E05C1400 80861423
	v_mfma_i32_16x16x32_i8 v[136:139], a[108:109], v[212:213], v[136:139]// 000000003D28: D3D70088 0E23A96C
	v_mfma_i32_16x16x32_i8 v[136:139], a[110:111], v[214:215], v[136:139]// 000000003D30: D3D70088 0E23AD6E
	buffer_load_dword v31, s[20:23], 0 offen lds               // 000000003D38: E0511000 8005001F
	s_add_u32 m0, 0x600, s51                                   // 000000003D40: 807C33FF 00000600
	v_mfma_i32_16x16x32_i8 v[140:143], a[96:97], v[216:217], v[140:143]// 000000003D48: D3D7008C 0E33B160
	v_mfma_i32_16x16x32_i8 v[140:143], a[98:99], v[218:219], v[140:143]// 000000003D50: D3D7008C 0E33B562
	buffer_load_dwordx4 a[24:27], v35, s[24:27], 0 offen offset:2048// 000000003D58: E05C1800 80861823
	v_mfma_i32_16x16x32_i8 v[140:143], a[100:101], v[220:221], v[140:143]// 000000003D60: D3D7008C 0E33B964
	v_mfma_i32_16x16x32_i8 v[140:143], a[102:103], v[222:223], v[140:143]// 000000003D68: D3D7008C 0E33BD66
	buffer_load_dword v32, s[20:23], 0 offen lds               // 000000003D70: E0511000 80050020
	s_add_u32 m0, 0x700, s51                                   // 000000003D78: 807C33FF 00000700
	v_mfma_i32_16x16x32_i8 v[140:143], a[104:105], v[224:225], v[140:143]// 000000003D80: D3D7008C 0E33C168
	v_mfma_i32_16x16x32_i8 v[140:143], a[106:107], v[226:227], v[140:143]// 000000003D88: D3D7008C 0E33C56A
	buffer_load_dwordx4 a[28:31], v35, s[24:27], 0 offen offset:3072// 000000003D90: E05C1C00 80861C23
	v_mfma_i32_16x16x32_i8 v[140:143], a[108:109], v[228:229], v[140:143]// 000000003D98: D3D7008C 0E33C96C
	v_mfma_i32_16x16x32_i8 v[140:143], a[110:111], v[230:231], v[140:143]// 000000003DA0: D3D7008C 0E33CD6E
	buffer_load_dword v33, s[20:23], 0 offen lds               // 000000003DA8: E0511000 80050021
	s_add_u32 m0, 0, s50                                       // 000000003DB0: 807C3280
	s_waitcnt vmcnt(24)                                        // 000000003DB4: BF8C4F78
	v_mfma_i32_16x16x32_i8 v[144:147], a[112:113], v[200:201], v[144:147]// 000000003DB8: D3D70090 0E439170
	v_mfma_i32_16x16x32_i8 v[144:147], a[114:115], v[202:203], v[144:147]// 000000003DC0: D3D70090 0E439572
	buffer_load_dwordx4 a[32:35], v36, s[24:27], 0 offen       // 000000003DC8: E05C1000 80862024
	v_mfma_i32_16x16x32_i8 v[144:147], a[116:117], v[204:205], v[144:147]// 000000003DD0: D3D70090 0E439974
	v_mfma_i32_16x16x32_i8 v[144:147], a[118:119], v[206:207], v[144:147]// 000000003DD8: D3D70090 0E439D76
	ds_read_b128 v[168:171], v2                                // 000000003DE0: D9FE0000 A8000002
	v_mfma_i32_16x16x32_i8 v[144:147], a[120:121], v[208:209], v[144:147]// 000000003DE8: D3D70090 0E43A178
	v_mfma_i32_16x16x32_i8 v[144:147], a[122:123], v[210:211], v[144:147]// 000000003DF0: D3D70090 0E43A57A
	buffer_load_dwordx4 a[36:39], v36, s[24:27], 0 offen offset:1024// 000000003DF8: E05C1400 80862424
	v_mfma_i32_16x16x32_i8 v[144:147], a[124:125], v[212:213], v[144:147]// 000000003E00: D3D70090 0E43A97C
	v_mfma_i32_16x16x32_i8 v[144:147], a[126:127], v[214:215], v[144:147]// 000000003E08: D3D70090 0E43AD7E
	ds_read_b128 v[172:175], v2 offset:64                      // 000000003E10: D9FE0040 AC000002
	v_mfma_i32_16x16x32_i8 v[148:151], a[112:113], v[216:217], v[148:151]// 000000003E18: D3D70094 0E53B170
	v_mfma_i32_16x16x32_i8 v[148:151], a[114:115], v[218:219], v[148:151]// 000000003E20: D3D70094 0E53B572
	buffer_load_dwordx4 a[40:43], v36, s[24:27], 0 offen offset:2048// 000000003E28: E05C1800 80862824
	v_mfma_i32_16x16x32_i8 v[148:151], a[116:117], v[220:221], v[148:151]// 000000003E30: D3D70094 0E53B974
	v_mfma_i32_16x16x32_i8 v[148:151], a[118:119], v[222:223], v[148:151]// 000000003E38: D3D70094 0E53BD76
	ds_read_b128 v[176:179], v2 offset:128                     // 000000003E40: D9FE0080 B0000002
	v_mfma_i32_16x16x32_i8 v[148:151], a[120:121], v[224:225], v[148:151]// 000000003E48: D3D70094 0E53C178
	v_mfma_i32_16x16x32_i8 v[148:151], a[122:123], v[226:227], v[148:151]// 000000003E50: D3D70094 0E53C57A
	buffer_load_dwordx4 a[44:47], v36, s[24:27], 0 offen offset:3072// 000000003E58: E05C1C00 80862C24
	v_mfma_i32_16x16x32_i8 v[148:151], a[124:125], v[228:229], v[148:151]// 000000003E60: D3D70094 0E53C97C
	v_mfma_i32_16x16x32_i8 v[148:151], a[126:127], v[230:231], v[148:151]// 000000003E68: D3D70094 0E53CD7E
	ds_read_b128 v[180:183], v2 offset:192                     // 000000003E70: D9FE00C0 B4000002
	s_waitcnt vmcnt(24)                                        // 000000003E78: BF8C4F78
	v_mfma_i32_16x16x32_i8 v[152:155], a[128:129], v[200:201], v[152:155]// 000000003E7C: D3D70098 0E639180
	v_mfma_i32_16x16x32_i8 v[152:155], a[130:131], v[202:203], v[152:155]// 000000003E84: D3D70098 0E639582
	buffer_load_dwordx4 a[48:51], v37, s[24:27], 0 offen       // 000000003E8C: E05C1000 80863025
	v_mfma_i32_16x16x32_i8 v[152:155], a[132:133], v[204:205], v[152:155]// 000000003E94: D3D70098 0E639984
	v_mfma_i32_16x16x32_i8 v[152:155], a[134:135], v[206:207], v[152:155]// 000000003E9C: D3D70098 0E639D86
	ds_read_b128 v[184:187], v2 offset:1024                    // 000000003EA4: D9FE0400 B8000002
	v_mfma_i32_16x16x32_i8 v[152:155], a[136:137], v[208:209], v[152:155]// 000000003EAC: D3D70098 0E63A188
	v_mfma_i32_16x16x32_i8 v[152:155], a[138:139], v[210:211], v[152:155]// 000000003EB4: D3D70098 0E63A58A
	buffer_load_dwordx4 a[52:55], v37, s[24:27], 0 offen offset:1024// 000000003EBC: E05C1400 80863425
	v_mfma_i32_16x16x32_i8 v[152:155], a[140:141], v[212:213], v[152:155]// 000000003EC4: D3D70098 0E63A98C
	v_mfma_i32_16x16x32_i8 v[152:155], a[142:143], v[214:215], v[152:155]// 000000003ECC: D3D70098 0E63AD8E
	ds_read_b128 v[188:191], v2 offset:1088                    // 000000003ED4: D9FE0440 BC000002
	v_mfma_i32_16x16x32_i8 v[156:159], a[128:129], v[216:217], v[156:159]// 000000003EDC: D3D7009C 0E73B180
	v_mfma_i32_16x16x32_i8 v[156:159], a[130:131], v[218:219], v[156:159]// 000000003EE4: D3D7009C 0E73B582
	buffer_load_dwordx4 a[56:59], v37, s[24:27], 0 offen offset:2048// 000000003EEC: E05C1800 80863825
	v_mfma_i32_16x16x32_i8 v[156:159], a[132:133], v[220:221], v[156:159]// 000000003EF4: D3D7009C 0E73B984
	v_mfma_i32_16x16x32_i8 v[156:159], a[134:135], v[222:223], v[156:159]// 000000003EFC: D3D7009C 0E73BD86
	ds_read_b128 v[192:195], v2 offset:1152                    // 000000003F04: D9FE0480 C0000002
	v_mfma_i32_16x16x32_i8 v[156:159], a[136:137], v[224:225], v[156:159]// 000000003F0C: D3D7009C 0E73C188
	v_mfma_i32_16x16x32_i8 v[156:159], a[138:139], v[226:227], v[156:159]// 000000003F14: D3D7009C 0E73C58A
	buffer_load_dwordx4 a[60:63], v37, s[24:27], 0 offen offset:3072// 000000003F1C: E05C1C00 80863C25
	v_mfma_i32_16x16x32_i8 v[156:159], a[140:141], v[228:229], v[156:159]// 000000003F24: D3D7009C 0E73C98C
	v_mfma_i32_16x16x32_i8 v[156:159], a[142:143], v[230:231], v[156:159]// 000000003F2C: D3D7009C 0E73CD8E
	ds_read_b128 v[196:199], v2 offset:1216                    // 000000003F34: D9FE04C0 C4000002
	s_waitcnt vmcnt(24)                                        // 000000003F3C: BF8C4F78
	v_mfma_i32_16x16x32_i8 v[160:163], a[144:145], v[200:201], v[160:163]// 000000003F40: D3D700A0 0E839190
	v_mfma_i32_16x16x32_i8 v[160:163], a[146:147], v[202:203], v[160:163]// 000000003F48: D3D700A0 0E839592
	buffer_load_dwordx4 a[64:67], v38, s[24:27], 0 offen       // 000000003F50: E05C1000 80864026
	v_mfma_i32_16x16x32_i8 v[160:163], a[148:149], v[204:205], v[160:163]// 000000003F58: D3D700A0 0E839994
	v_mfma_i32_16x16x32_i8 v[160:163], a[150:151], v[206:207], v[160:163]// 000000003F60: D3D700A0 0E839D96
	v_mfma_i32_16x16x32_i8 v[160:163], a[152:153], v[208:209], v[160:163]// 000000003F68: D3D700A0 0E83A198
	v_mfma_i32_16x16x32_i8 v[160:163], a[154:155], v[210:211], v[160:163]// 000000003F70: D3D700A0 0E83A59A
	buffer_load_dwordx4 a[68:71], v38, s[24:27], 0 offen offset:1024// 000000003F78: E05C1400 80864426
	v_mfma_i32_16x16x32_i8 v[160:163], a[156:157], v[212:213], v[160:163]// 000000003F80: D3D700A0 0E83A99C
	v_mfma_i32_16x16x32_i8 v[160:163], a[158:159], v[214:215], v[160:163]// 000000003F88: D3D700A0 0E83AD9E
	v_mfma_i32_16x16x32_i8 v[164:167], a[144:145], v[216:217], v[164:167]// 000000003F90: D3D700A4 0E93B190
	v_mfma_i32_16x16x32_i8 v[164:167], a[146:147], v[218:219], v[164:167]// 000000003F98: D3D700A4 0E93B592
	buffer_load_dwordx4 a[72:75], v38, s[24:27], 0 offen offset:2048// 000000003FA0: E05C1800 80864826
	v_mfma_i32_16x16x32_i8 v[164:167], a[148:149], v[220:221], v[164:167]// 000000003FA8: D3D700A4 0E93B994
	v_mfma_i32_16x16x32_i8 v[164:167], a[150:151], v[222:223], v[164:167]// 000000003FB0: D3D700A4 0E93BD96
	v_mfma_i32_16x16x32_i8 v[164:167], a[152:153], v[224:225], v[164:167]// 000000003FB8: D3D700A4 0E93C198
	v_mfma_i32_16x16x32_i8 v[164:167], a[154:155], v[226:227], v[164:167]// 000000003FC0: D3D700A4 0E93C59A
	buffer_load_dwordx4 a[76:79], v38, s[24:27], 0 offen offset:3072// 000000003FC8: E05C1C00 80864C26
	v_mfma_i32_16x16x32_i8 v[164:167], a[156:157], v[228:229], v[164:167]// 000000003FD0: D3D700A4 0E93C99C
	v_mfma_i32_16x16x32_i8 v[164:167], a[158:159], v[230:231], v[164:167]// 000000003FD8: D3D700A4 0E93CD9E
	s_add_u32 s60, 0x300, s80                                  // 000000003FE0: 803C50FF 00000300
	s_cmp_lt_u32 s60, s81                                      // 000000003FE8: BF0A513C
	s_cselect_b32 s57, s57, 0                                  // 000000003FEC: 85398039
	s_add_u32 s60, 0x200, s80                                  // 000000003FF0: 803C50FF 00000200
	s_cmp_lt_u32 s60, s81                                      // 000000003FF8: BF0A513C
	s_cselect_b32 s58, s58, 0                                  // 000000003FFC: 853A803A
	s_add_u32 s20, s57, s20                                    // 000000004000: 80141439
	s_addc_u32 s21, 0, s21                                     // 000000004004: 82151580
	s_add_u32 s24, s58, s24                                    // 000000004008: 8018183A
	s_addc_u32 s25, 0, s25                                     // 00000000400C: 82191980
	s_addk_i32 s80, 0x100                                      // 000000004010: B7500100
	s_cmp_lt_i32 s80, s81                                      // 000000004014: BF045150
	s_cbranch_scc0 label_0488                                  // 000000004018: BF840001
	s_branch label_0271                                        // 00000000401C: BF82FDE9

0000000000004020 <label_0488>:
	s_mov_b32 s36, -1                                          // 000000004020: BEA400C1
	s_mov_b32 s37, -1                                          // 000000004024: BEA500C1
	s_mov_b64 s[60:61], 0                                      // 000000004028: BEBC0180
	s_cmp_lt_u32 s82, s66                                      // 00000000402C: BF0A4252
	s_cselect_b64 s[20:21], s[36:37], s[60:61]                 // 000000004030: 85943C24
	s_cmp_lt_u32 s83, s66                                      // 000000004034: BF0A4253
	s_cselect_b64 s[22:23], s[36:37], s[60:61]                 // 000000004038: 85963C24
	s_cmp_lt_u32 s84, s66                                      // 00000000403C: BF0A4254
	s_cselect_b64 s[24:25], s[36:37], s[60:61]                 // 000000004040: 85983C24
	s_cmp_lt_u32 s85, s66                                      // 000000004044: BF0A4255
	s_cselect_b64 s[26:27], s[36:37], s[60:61]                 // 000000004048: 859A3C24
	s_cmp_lt_u32 s86, s66                                      // 00000000404C: BF0A4256
	s_cselect_b64 s[28:29], s[36:37], s[60:61]                 // 000000004050: 859C3C24
	s_cmp_lt_u32 s87, s66                                      // 000000004054: BF0A4257
	s_cselect_b64 s[30:31], s[36:37], s[60:61]                 // 000000004058: 859E3C24
	s_cmp_lt_u32 s88, s66                                      // 00000000405C: BF0A4258
	s_cselect_b64 s[32:33], s[36:37], s[60:61]                 // 000000004060: 85A03C24
	s_cmp_lt_u32 s89, s66                                      // 000000004064: BF0A4259
	s_cselect_b64 s[34:35], s[36:37], s[60:61]                 // 000000004068: 85A23C24
	v_cvt_f32_i32_e32 v128, v128                               // 00000000406C: 7F000B80
	v_cvt_f32_i32_e32 v129, v129                               // 000000004070: 7F020B81
	v_cvt_f32_i32_e32 v130, v130                               // 000000004074: 7F040B82
	v_cvt_f32_i32_e32 v131, v131                               // 000000004078: 7F060B83
	v_mul_f32_e32 v128, v14, v128                              // 00000000407C: 0B01010E
	v_mul_f32_e32 v129, v14, v129                              // 000000004080: 0B03030E
	v_mul_f32_e32 v130, v14, v130                              // 000000004084: 0B05050E
	v_mul_f32_e32 v131, v14, v131                              // 000000004088: 0B07070E
	v_mul_f32_dpp v128, v16, v128 row_newbcast:0 row_mask:0xf bank_mask:0xf// 00000000408C: 0B0100FA FF015010
	v_mul_f32_dpp v129, v16, v129 row_newbcast:1 row_mask:0xf bank_mask:0xf// 000000004094: 0B0302FA FF015110
	v_mul_f32_dpp v130, v16, v130 row_newbcast:2 row_mask:0xf bank_mask:0xf// 00000000409C: 0B0504FA FF015210
	v_mul_f32_dpp v131, v16, v131 row_newbcast:3 row_mask:0xf bank_mask:0xf// 0000000040A4: 0B0706FA FF015310
	v_cvt_f32_i32_e32 v132, v132                               // 0000000040AC: 7F080B84
	v_cvt_f32_i32_e32 v133, v133                               // 0000000040B0: 7F0A0B85
	v_cvt_f32_i32_e32 v134, v134                               // 0000000040B4: 7F0C0B86
	v_cvt_f32_i32_e32 v135, v135                               // 0000000040B8: 7F0E0B87
	v_mul_f32_e32 v132, v15, v132                              // 0000000040BC: 0B09090F
	v_mul_f32_e32 v133, v15, v133                              // 0000000040C0: 0B0B0B0F
	v_mul_f32_e32 v134, v15, v134                              // 0000000040C4: 0B0D0D0F
	v_mul_f32_e32 v135, v15, v135                              // 0000000040C8: 0B0F0F0F
	v_mul_f32_dpp v132, v16, v132 row_newbcast:0 row_mask:0xf bank_mask:0xf// 0000000040CC: 0B0908FA FF015010
	v_mul_f32_dpp v133, v16, v133 row_newbcast:1 row_mask:0xf bank_mask:0xf// 0000000040D4: 0B0B0AFA FF015110
	v_mul_f32_dpp v134, v16, v134 row_newbcast:2 row_mask:0xf bank_mask:0xf// 0000000040DC: 0B0D0CFA FF015210
	v_mul_f32_dpp v135, v16, v135 row_newbcast:3 row_mask:0xf bank_mask:0xf// 0000000040E4: 0B0F0EFA FF015310
	v_cvt_f32_i32_e32 v136, v136                               // 0000000040EC: 7F100B88
	v_cvt_f32_i32_e32 v137, v137                               // 0000000040F0: 7F120B89
	v_cvt_f32_i32_e32 v138, v138                               // 0000000040F4: 7F140B8A
	v_cvt_f32_i32_e32 v139, v139                               // 0000000040F8: 7F160B8B
	v_mul_f32_e32 v136, v14, v136                              // 0000000040FC: 0B11110E
	v_mul_f32_e32 v137, v14, v137                              // 000000004100: 0B13130E
	v_mul_f32_e32 v138, v14, v138                              // 000000004104: 0B15150E
	v_mul_f32_e32 v139, v14, v139                              // 000000004108: 0B17170E
	v_mul_f32_dpp v136, v16, v136 row_newbcast:4 row_mask:0xf bank_mask:0xf// 00000000410C: 0B1110FA FF015410
	v_mul_f32_dpp v137, v16, v137 row_newbcast:5 row_mask:0xf bank_mask:0xf// 000000004114: 0B1312FA FF015510
	v_mul_f32_dpp v138, v16, v138 row_newbcast:6 row_mask:0xf bank_mask:0xf// 00000000411C: 0B1514FA FF015610
	v_mul_f32_dpp v139, v16, v139 row_newbcast:7 row_mask:0xf bank_mask:0xf// 000000004124: 0B1716FA FF015710
	v_cvt_f32_i32_e32 v140, v140                               // 00000000412C: 7F180B8C
	v_cvt_f32_i32_e32 v141, v141                               // 000000004130: 7F1A0B8D
	v_cvt_f32_i32_e32 v142, v142                               // 000000004134: 7F1C0B8E
	v_cvt_f32_i32_e32 v143, v143                               // 000000004138: 7F1E0B8F
	v_mul_f32_e32 v140, v15, v140                              // 00000000413C: 0B19190F
	v_mul_f32_e32 v141, v15, v141                              // 000000004140: 0B1B1B0F
	v_mul_f32_e32 v142, v15, v142                              // 000000004144: 0B1D1D0F
	v_mul_f32_e32 v143, v15, v143                              // 000000004148: 0B1F1F0F
	v_mul_f32_dpp v140, v16, v140 row_newbcast:4 row_mask:0xf bank_mask:0xf// 00000000414C: 0B1918FA FF015410
	v_mul_f32_dpp v141, v16, v141 row_newbcast:5 row_mask:0xf bank_mask:0xf// 000000004154: 0B1B1AFA FF015510
	v_mul_f32_dpp v142, v16, v142 row_newbcast:6 row_mask:0xf bank_mask:0xf// 00000000415C: 0B1D1CFA FF015610
	v_mul_f32_dpp v143, v16, v143 row_newbcast:7 row_mask:0xf bank_mask:0xf// 000000004164: 0B1F1EFA FF015710
	v_cvt_f32_i32_e32 v144, v144                               // 00000000416C: 7F200B90
	v_cvt_f32_i32_e32 v145, v145                               // 000000004170: 7F220B91
	v_cvt_f32_i32_e32 v146, v146                               // 000000004174: 7F240B92
	v_cvt_f32_i32_e32 v147, v147                               // 000000004178: 7F260B93
	v_mul_f32_e32 v144, v14, v144                              // 00000000417C: 0B21210E
	v_mul_f32_e32 v145, v14, v145                              // 000000004180: 0B23230E
	v_mul_f32_e32 v146, v14, v146                              // 000000004184: 0B25250E
	v_mul_f32_e32 v147, v14, v147                              // 000000004188: 0B27270E
	v_mul_f32_dpp v144, v16, v144 row_newbcast:8 row_mask:0xf bank_mask:0xf// 00000000418C: 0B2120FA FF015810
	v_mul_f32_dpp v145, v16, v145 row_newbcast:9 row_mask:0xf bank_mask:0xf// 000000004194: 0B2322FA FF015910
	v_mul_f32_dpp v146, v16, v146 row_newbcast:10 row_mask:0xf bank_mask:0xf// 00000000419C: 0B2524FA FF015A10
	v_mul_f32_dpp v147, v16, v147 row_newbcast:11 row_mask:0xf bank_mask:0xf// 0000000041A4: 0B2726FA FF015B10
	v_cvt_f32_i32_e32 v148, v148                               // 0000000041AC: 7F280B94
	v_cvt_f32_i32_e32 v149, v149                               // 0000000041B0: 7F2A0B95
	v_cvt_f32_i32_e32 v150, v150                               // 0000000041B4: 7F2C0B96
	v_cvt_f32_i32_e32 v151, v151                               // 0000000041B8: 7F2E0B97
	v_mul_f32_e32 v148, v15, v148                              // 0000000041BC: 0B29290F
	v_mul_f32_e32 v149, v15, v149                              // 0000000041C0: 0B2B2B0F
	v_mul_f32_e32 v150, v15, v150                              // 0000000041C4: 0B2D2D0F
	v_mul_f32_e32 v151, v15, v151                              // 0000000041C8: 0B2F2F0F
	v_mul_f32_dpp v148, v16, v148 row_newbcast:8 row_mask:0xf bank_mask:0xf// 0000000041CC: 0B2928FA FF015810
	v_mul_f32_dpp v149, v16, v149 row_newbcast:9 row_mask:0xf bank_mask:0xf// 0000000041D4: 0B2B2AFA FF015910
	v_mul_f32_dpp v150, v16, v150 row_newbcast:10 row_mask:0xf bank_mask:0xf// 0000000041DC: 0B2D2CFA FF015A10
	v_mul_f32_dpp v151, v16, v151 row_newbcast:11 row_mask:0xf bank_mask:0xf// 0000000041E4: 0B2F2EFA FF015B10
	v_cvt_f32_i32_e32 v152, v152                               // 0000000041EC: 7F300B98
	v_cvt_f32_i32_e32 v153, v153                               // 0000000041F0: 7F320B99
	v_cvt_f32_i32_e32 v154, v154                               // 0000000041F4: 7F340B9A
	v_cvt_f32_i32_e32 v155, v155                               // 0000000041F8: 7F360B9B
	v_mul_f32_e32 v152, v14, v152                              // 0000000041FC: 0B31310E
	v_mul_f32_e32 v153, v14, v153                              // 000000004200: 0B33330E
	v_mul_f32_e32 v154, v14, v154                              // 000000004204: 0B35350E
	v_mul_f32_e32 v155, v14, v155                              // 000000004208: 0B37370E
	v_mul_f32_dpp v152, v16, v152 row_newbcast:12 row_mask:0xf bank_mask:0xf// 00000000420C: 0B3130FA FF015C10
	v_mul_f32_dpp v153, v16, v153 row_newbcast:13 row_mask:0xf bank_mask:0xf// 000000004214: 0B3332FA FF015D10
	v_mul_f32_dpp v154, v16, v154 row_newbcast:14 row_mask:0xf bank_mask:0xf// 00000000421C: 0B3534FA FF015E10
	v_mul_f32_dpp v155, v16, v155 row_newbcast:15 row_mask:0xf bank_mask:0xf// 000000004224: 0B3736FA FF015F10
	v_cvt_f32_i32_e32 v156, v156                               // 00000000422C: 7F380B9C
	v_cvt_f32_i32_e32 v157, v157                               // 000000004230: 7F3A0B9D
	v_cvt_f32_i32_e32 v158, v158                               // 000000004234: 7F3C0B9E
	v_cvt_f32_i32_e32 v159, v159                               // 000000004238: 7F3E0B9F
	v_mul_f32_e32 v156, v15, v156                              // 00000000423C: 0B39390F
	v_mul_f32_e32 v157, v15, v157                              // 000000004240: 0B3B3B0F
	v_mul_f32_e32 v158, v15, v158                              // 000000004244: 0B3D3D0F
	v_mul_f32_e32 v159, v15, v159                              // 000000004248: 0B3F3F0F
	v_mul_f32_dpp v156, v16, v156 row_newbcast:12 row_mask:0xf bank_mask:0xf// 00000000424C: 0B3938FA FF015C10
	v_mul_f32_dpp v157, v16, v157 row_newbcast:13 row_mask:0xf bank_mask:0xf// 000000004254: 0B3B3AFA FF015D10
	v_mul_f32_dpp v158, v16, v158 row_newbcast:14 row_mask:0xf bank_mask:0xf// 00000000425C: 0B3D3CFA FF015E10
	v_mul_f32_dpp v159, v16, v159 row_newbcast:15 row_mask:0xf bank_mask:0xf// 000000004264: 0B3F3EFA FF015F10
	v_cvt_f32_i32_e32 v160, v160                               // 00000000426C: 7F400BA0
	v_cvt_f32_i32_e32 v161, v161                               // 000000004270: 7F420BA1
	v_cvt_f32_i32_e32 v162, v162                               // 000000004274: 7F440BA2
	v_cvt_f32_i32_e32 v163, v163                               // 000000004278: 7F460BA3
	v_mul_f32_e32 v160, v14, v160                              // 00000000427C: 0B41410E
	v_mul_f32_e32 v161, v14, v161                              // 000000004280: 0B43430E
	v_mul_f32_e32 v162, v14, v162                              // 000000004284: 0B45450E
	v_mul_f32_e32 v163, v14, v163                              // 000000004288: 0B47470E
	v_mul_f32_dpp v160, v17, v160 row_newbcast:0 row_mask:0xf bank_mask:0xf// 00000000428C: 0B4140FA FF015011
	v_mul_f32_dpp v161, v17, v161 row_newbcast:1 row_mask:0xf bank_mask:0xf// 000000004294: 0B4342FA FF015111
	v_mul_f32_dpp v162, v17, v162 row_newbcast:2 row_mask:0xf bank_mask:0xf// 00000000429C: 0B4544FA FF015211
	v_mul_f32_dpp v163, v17, v163 row_newbcast:3 row_mask:0xf bank_mask:0xf// 0000000042A4: 0B4746FA FF015311
	v_cvt_f32_i32_e32 v164, v164                               // 0000000042AC: 7F480BA4
	v_cvt_f32_i32_e32 v165, v165                               // 0000000042B0: 7F4A0BA5
	v_cvt_f32_i32_e32 v166, v166                               // 0000000042B4: 7F4C0BA6
	v_cvt_f32_i32_e32 v167, v167                               // 0000000042B8: 7F4E0BA7
	v_mul_f32_e32 v164, v15, v164                              // 0000000042BC: 0B49490F
	v_mul_f32_e32 v165, v15, v165                              // 0000000042C0: 0B4B4B0F
	v_mul_f32_e32 v166, v15, v166                              // 0000000042C4: 0B4D4D0F
	v_mul_f32_e32 v167, v15, v167                              // 0000000042C8: 0B4F4F0F
	v_mul_f32_dpp v164, v17, v164 row_newbcast:0 row_mask:0xf bank_mask:0xf// 0000000042CC: 0B4948FA FF015011
	v_mul_f32_dpp v165, v17, v165 row_newbcast:1 row_mask:0xf bank_mask:0xf// 0000000042D4: 0B4B4AFA FF015111
	v_mul_f32_dpp v166, v17, v166 row_newbcast:2 row_mask:0xf bank_mask:0xf// 0000000042DC: 0B4D4CFA FF015211
	v_mul_f32_dpp v167, v17, v167 row_newbcast:3 row_mask:0xf bank_mask:0xf// 0000000042E4: 0B4F4EFA FF015311
	s_waitcnt vmcnt(16)                                        // 0000000042EC: BF8C4F70
	buffer_load_dwordx4 a[0:3], v39, s[12:15], 0 offen         // 0000000042F0: E05C1000 80830027
	v_mul_f32_e32 v48, v128, v128                              // 0000000042F8: 0A610180
	v_mul_f32_e32 v49, v129, v129                              // 0000000042FC: 0A630381
	v_mul_f32_e32 v50, v130, v130                              // 000000004300: 0A650582
	v_mul_f32_e32 v51, v131, v131                              // 000000004304: 0A670783
	v_fma_f32 v48, v48, s77, v1                                // 000000004308: D1CB0030 04049B30
	v_fma_f32 v49, v49, s77, v1                                // 000000004310: D1CB0031 04049B31
	v_fma_f32 v50, v50, s77, v1                                // 000000004318: D1CB0032 04049B32
	v_fma_f32 v51, v51, s77, v1                                // 000000004320: D1CB0033 04049B33
	v_mul_f32_e32 v48, v48, v128                               // 000000004328: 0A610130
	v_mul_f32_e32 v49, v49, v129                               // 00000000432C: 0A630331
	v_mul_f32_e32 v50, v50, v130                               // 000000004330: 0A650532
	v_mul_f32_e32 v51, v51, v131                               // 000000004334: 0A670733
	v_mul_f32_e64 v48, v48, s6                                 // 000000004338: D1050030 00000D30
	v_mul_f32_e64 v49, v49, s6                                 // 000000004340: D1050031 00000D31
	v_mul_f32_e64 v50, v50, s6                                 // 000000004348: D1050032 00000D32
	v_mul_f32_e64 v51, v51, s6                                 // 000000004350: D1050033 00000D33
	v_exp_f32_e32 v48, v48                                     // 000000004358: 7E604130
	v_exp_f32_e32 v49, v49                                     // 00000000435C: 7E624131
	v_exp_f32_e32 v50, v50                                     // 000000004360: 7E644132
	v_exp_f32_e32 v51, v51                                     // 000000004364: 7E664133
	buffer_load_dwordx4 a[4:7], v40, s[12:15], 0 offen         // 000000004368: E05C1000 80830428
	v_add_f32_e64 v48, v48, 1.0                                // 000000004370: D1010030 0001E530
	v_add_f32_e64 v49, v49, 1.0                                // 000000004378: D1010031 0001E531
	v_add_f32_e64 v50, v50, 1.0                                // 000000004380: D1010032 0001E532
	v_add_f32_e64 v51, v51, 1.0                                // 000000004388: D1010033 0001E533
	v_rcp_f32_e32 v48, v48                                     // 000000004390: 7E604530
	v_rcp_f32_e32 v49, v49                                     // 000000004394: 7E624531
	v_rcp_f32_e32 v50, v50                                     // 000000004398: 7E644532
	v_rcp_f32_e32 v51, v51                                     // 00000000439C: 7E664533
	v_mul_f32_e32 v128, v128, v48                              // 0000000043A0: 0B006180
	v_mul_f32_e32 v129, v129, v49                              // 0000000043A4: 0B026381
	v_mul_f32_e32 v130, v130, v50                              // 0000000043A8: 0B046582
	v_mul_f32_e32 v131, v131, v51                              // 0000000043AC: 0B066783
	buffer_load_dwordx4 a[8:11], v41, s[12:15], 0 offen        // 0000000043B0: E05C1000 80830829
	v_mul_f32_e32 v48, v132, v132                              // 0000000043B8: 0A610984
	v_mul_f32_e32 v49, v133, v133                              // 0000000043BC: 0A630B85
	v_mul_f32_e32 v50, v134, v134                              // 0000000043C0: 0A650D86
	v_mul_f32_e32 v51, v135, v135                              // 0000000043C4: 0A670F87
	v_fma_f32 v48, v48, s77, v1                                // 0000000043C8: D1CB0030 04049B30
	v_fma_f32 v49, v49, s77, v1                                // 0000000043D0: D1CB0031 04049B31
	v_fma_f32 v50, v50, s77, v1                                // 0000000043D8: D1CB0032 04049B32
	v_fma_f32 v51, v51, s77, v1                                // 0000000043E0: D1CB0033 04049B33
	v_mul_f32_e32 v48, v48, v132                               // 0000000043E8: 0A610930
	v_mul_f32_e32 v49, v49, v133                               // 0000000043EC: 0A630B31
	v_mul_f32_e32 v50, v50, v134                               // 0000000043F0: 0A650D32
	v_mul_f32_e32 v51, v51, v135                               // 0000000043F4: 0A670F33
	v_mul_f32_e64 v48, v48, s6                                 // 0000000043F8: D1050030 00000D30
	v_mul_f32_e64 v49, v49, s6                                 // 000000004400: D1050031 00000D31
	v_mul_f32_e64 v50, v50, s6                                 // 000000004408: D1050032 00000D32
	v_mul_f32_e64 v51, v51, s6                                 // 000000004410: D1050033 00000D33
	v_exp_f32_e32 v48, v48                                     // 000000004418: 7E604130
	v_exp_f32_e32 v49, v49                                     // 00000000441C: 7E624131
	v_exp_f32_e32 v50, v50                                     // 000000004420: 7E644132
	v_exp_f32_e32 v51, v51                                     // 000000004424: 7E664133
	buffer_load_dwordx4 a[12:15], v42, s[12:15], 0 offen       // 000000004428: E05C1000 80830C2A
	s_add_u32 s12, s78, s12                                    // 000000004430: 800C0C4E
	s_addc_u32 s13, 0, s13                                     // 000000004434: 820D0D80
	v_add_f32_e64 v48, v48, 1.0                                // 000000004438: D1010030 0001E530
	v_add_f32_e64 v49, v49, 1.0                                // 000000004440: D1010031 0001E531
	v_add_f32_e64 v50, v50, 1.0                                // 000000004448: D1010032 0001E532
	v_add_f32_e64 v51, v51, 1.0                                // 000000004450: D1010033 0001E533
	v_rcp_f32_e32 v48, v48                                     // 000000004458: 7E604530
	v_rcp_f32_e32 v49, v49                                     // 00000000445C: 7E624531
	v_rcp_f32_e32 v50, v50                                     // 000000004460: 7E644532
	v_rcp_f32_e32 v51, v51                                     // 000000004464: 7E664533
	v_mul_f32_e32 v132, v132, v48                              // 000000004468: 0B086184
	v_mul_f32_e32 v133, v133, v49                              // 00000000446C: 0B0A6385
	v_mul_f32_e32 v134, v134, v50                              // 000000004470: 0B0C6586
	v_mul_f32_e32 v135, v135, v51                              // 000000004474: 0B0E6787
	s_waitcnt vmcnt(16)                                        // 000000004478: BF8C4F70
	buffer_load_dwordx4 a[16:19], v39, s[12:15], 0 offen       // 00000000447C: E05C1000 80831027
	v_mul_f32_e32 v48, v136, v136                              // 000000004484: 0A611188
	v_mul_f32_e32 v49, v137, v137                              // 000000004488: 0A631389
	v_mul_f32_e32 v50, v138, v138                              // 00000000448C: 0A65158A
	v_mul_f32_e32 v51, v139, v139                              // 000000004490: 0A67178B
	v_fma_f32 v48, v48, s77, v1                                // 000000004494: D1CB0030 04049B30
	v_fma_f32 v49, v49, s77, v1                                // 00000000449C: D1CB0031 04049B31
	v_fma_f32 v50, v50, s77, v1                                // 0000000044A4: D1CB0032 04049B32
	v_fma_f32 v51, v51, s77, v1                                // 0000000044AC: D1CB0033 04049B33
	v_mul_f32_e32 v48, v48, v136                               // 0000000044B4: 0A611130
	v_mul_f32_e32 v49, v49, v137                               // 0000000044B8: 0A631331
	v_mul_f32_e32 v50, v50, v138                               // 0000000044BC: 0A651532
	v_mul_f32_e32 v51, v51, v139                               // 0000000044C0: 0A671733
	v_mul_f32_e64 v48, v48, s6                                 // 0000000044C4: D1050030 00000D30
	v_mul_f32_e64 v49, v49, s6                                 // 0000000044CC: D1050031 00000D31
	v_mul_f32_e64 v50, v50, s6                                 // 0000000044D4: D1050032 00000D32
	v_mul_f32_e64 v51, v51, s6                                 // 0000000044DC: D1050033 00000D33
	v_exp_f32_e32 v48, v48                                     // 0000000044E4: 7E604130
	v_exp_f32_e32 v49, v49                                     // 0000000044E8: 7E624131
	v_exp_f32_e32 v50, v50                                     // 0000000044EC: 7E644132
	v_exp_f32_e32 v51, v51                                     // 0000000044F0: 7E664133
	buffer_load_dwordx4 a[20:23], v40, s[12:15], 0 offen       // 0000000044F4: E05C1000 80831428
	v_add_f32_e64 v48, v48, 1.0                                // 0000000044FC: D1010030 0001E530
	v_add_f32_e64 v49, v49, 1.0                                // 000000004504: D1010031 0001E531
	v_add_f32_e64 v50, v50, 1.0                                // 00000000450C: D1010032 0001E532
	v_add_f32_e64 v51, v51, 1.0                                // 000000004514: D1010033 0001E533
	v_rcp_f32_e32 v48, v48                                     // 00000000451C: 7E604530
	v_rcp_f32_e32 v49, v49                                     // 000000004520: 7E624531
	v_rcp_f32_e32 v50, v50                                     // 000000004524: 7E644532
	v_rcp_f32_e32 v51, v51                                     // 000000004528: 7E664533
	v_mul_f32_e32 v136, v136, v48                              // 00000000452C: 0B106188
	v_mul_f32_e32 v137, v137, v49                              // 000000004530: 0B126389
	v_mul_f32_e32 v138, v138, v50                              // 000000004534: 0B14658A
	v_mul_f32_e32 v139, v139, v51                              // 000000004538: 0B16678B
	buffer_load_dwordx4 a[24:27], v41, s[12:15], 0 offen       // 00000000453C: E05C1000 80831829
	v_mul_f32_e32 v48, v140, v140                              // 000000004544: 0A61198C
	v_mul_f32_e32 v49, v141, v141                              // 000000004548: 0A631B8D
	v_mul_f32_e32 v50, v142, v142                              // 00000000454C: 0A651D8E
	v_mul_f32_e32 v51, v143, v143                              // 000000004550: 0A671F8F
	v_fma_f32 v48, v48, s77, v1                                // 000000004554: D1CB0030 04049B30
	v_fma_f32 v49, v49, s77, v1                                // 00000000455C: D1CB0031 04049B31
	v_fma_f32 v50, v50, s77, v1                                // 000000004564: D1CB0032 04049B32
	v_fma_f32 v51, v51, s77, v1                                // 00000000456C: D1CB0033 04049B33
	v_mul_f32_e32 v48, v48, v140                               // 000000004574: 0A611930
	v_mul_f32_e32 v49, v49, v141                               // 000000004578: 0A631B31
	v_mul_f32_e32 v50, v50, v142                               // 00000000457C: 0A651D32
	v_mul_f32_e32 v51, v51, v143                               // 000000004580: 0A671F33
	v_mul_f32_e64 v48, v48, s6                                 // 000000004584: D1050030 00000D30
	v_mul_f32_e64 v49, v49, s6                                 // 00000000458C: D1050031 00000D31
	v_mul_f32_e64 v50, v50, s6                                 // 000000004594: D1050032 00000D32
	v_mul_f32_e64 v51, v51, s6                                 // 00000000459C: D1050033 00000D33
	v_exp_f32_e32 v48, v48                                     // 0000000045A4: 7E604130
	v_exp_f32_e32 v49, v49                                     // 0000000045A8: 7E624131
	v_exp_f32_e32 v50, v50                                     // 0000000045AC: 7E644132
	v_exp_f32_e32 v51, v51                                     // 0000000045B0: 7E664133
	buffer_load_dwordx4 a[28:31], v42, s[12:15], 0 offen       // 0000000045B4: E05C1000 80831C2A
	s_add_u32 s12, s78, s12                                    // 0000000045BC: 800C0C4E
	s_addc_u32 s13, 0, s13                                     // 0000000045C0: 820D0D80
	v_add_f32_e64 v48, v48, 1.0                                // 0000000045C4: D1010030 0001E530
	v_add_f32_e64 v49, v49, 1.0                                // 0000000045CC: D1010031 0001E531
	v_add_f32_e64 v50, v50, 1.0                                // 0000000045D4: D1010032 0001E532
	v_add_f32_e64 v51, v51, 1.0                                // 0000000045DC: D1010033 0001E533
	v_rcp_f32_e32 v48, v48                                     // 0000000045E4: 7E604530
	v_rcp_f32_e32 v49, v49                                     // 0000000045E8: 7E624531
	v_rcp_f32_e32 v50, v50                                     // 0000000045EC: 7E644532
	v_rcp_f32_e32 v51, v51                                     // 0000000045F0: 7E664533
	v_mul_f32_e32 v140, v140, v48                              // 0000000045F4: 0B18618C
	v_mul_f32_e32 v141, v141, v49                              // 0000000045F8: 0B1A638D
	v_mul_f32_e32 v142, v142, v50                              // 0000000045FC: 0B1C658E
	v_mul_f32_e32 v143, v143, v51                              // 000000004600: 0B1E678F
	s_waitcnt vmcnt(16)                                        // 000000004604: BF8C4F70
	buffer_load_dwordx4 a[32:35], v39, s[12:15], 0 offen       // 000000004608: E05C1000 80832027
	v_mul_f32_e32 v48, v144, v144                              // 000000004610: 0A612190
	v_mul_f32_e32 v49, v145, v145                              // 000000004614: 0A632391
	v_mul_f32_e32 v50, v146, v146                              // 000000004618: 0A652592
	v_mul_f32_e32 v51, v147, v147                              // 00000000461C: 0A672793
	v_fma_f32 v48, v48, s77, v1                                // 000000004620: D1CB0030 04049B30
	v_fma_f32 v49, v49, s77, v1                                // 000000004628: D1CB0031 04049B31
	v_fma_f32 v50, v50, s77, v1                                // 000000004630: D1CB0032 04049B32
	v_fma_f32 v51, v51, s77, v1                                // 000000004638: D1CB0033 04049B33
	v_mul_f32_e32 v48, v48, v144                               // 000000004640: 0A612130
	v_mul_f32_e32 v49, v49, v145                               // 000000004644: 0A632331
	v_mul_f32_e32 v50, v50, v146                               // 000000004648: 0A652532
	v_mul_f32_e32 v51, v51, v147                               // 00000000464C: 0A672733
	v_mul_f32_e64 v48, v48, s6                                 // 000000004650: D1050030 00000D30
	v_mul_f32_e64 v49, v49, s6                                 // 000000004658: D1050031 00000D31
	v_mul_f32_e64 v50, v50, s6                                 // 000000004660: D1050032 00000D32
	v_mul_f32_e64 v51, v51, s6                                 // 000000004668: D1050033 00000D33
	v_exp_f32_e32 v48, v48                                     // 000000004670: 7E604130
	v_exp_f32_e32 v49, v49                                     // 000000004674: 7E624131
	v_exp_f32_e32 v50, v50                                     // 000000004678: 7E644132
	v_exp_f32_e32 v51, v51                                     // 00000000467C: 7E664133
	buffer_load_dwordx4 a[36:39], v40, s[12:15], 0 offen       // 000000004680: E05C1000 80832428
	v_add_f32_e64 v48, v48, 1.0                                // 000000004688: D1010030 0001E530
	v_add_f32_e64 v49, v49, 1.0                                // 000000004690: D1010031 0001E531
	v_add_f32_e64 v50, v50, 1.0                                // 000000004698: D1010032 0001E532
	v_add_f32_e64 v51, v51, 1.0                                // 0000000046A0: D1010033 0001E533
	v_rcp_f32_e32 v48, v48                                     // 0000000046A8: 7E604530
	v_rcp_f32_e32 v49, v49                                     // 0000000046AC: 7E624531
	v_rcp_f32_e32 v50, v50                                     // 0000000046B0: 7E644532
	v_rcp_f32_e32 v51, v51                                     // 0000000046B4: 7E664533
	v_mul_f32_e32 v144, v144, v48                              // 0000000046B8: 0B206190
	v_mul_f32_e32 v145, v145, v49                              // 0000000046BC: 0B226391
	v_mul_f32_e32 v146, v146, v50                              // 0000000046C0: 0B246592
	v_mul_f32_e32 v147, v147, v51                              // 0000000046C4: 0B266793
	buffer_load_dwordx4 a[40:43], v41, s[12:15], 0 offen       // 0000000046C8: E05C1000 80832829
	v_mul_f32_e32 v48, v148, v148                              // 0000000046D0: 0A612994
	v_mul_f32_e32 v49, v149, v149                              // 0000000046D4: 0A632B95
	v_mul_f32_e32 v50, v150, v150                              // 0000000046D8: 0A652D96
	v_mul_f32_e32 v51, v151, v151                              // 0000000046DC: 0A672F97
	v_fma_f32 v48, v48, s77, v1                                // 0000000046E0: D1CB0030 04049B30
	v_fma_f32 v49, v49, s77, v1                                // 0000000046E8: D1CB0031 04049B31
	v_fma_f32 v50, v50, s77, v1                                // 0000000046F0: D1CB0032 04049B32
	v_fma_f32 v51, v51, s77, v1                                // 0000000046F8: D1CB0033 04049B33
	v_mul_f32_e32 v48, v48, v148                               // 000000004700: 0A612930
	v_mul_f32_e32 v49, v49, v149                               // 000000004704: 0A632B31
	v_mul_f32_e32 v50, v50, v150                               // 000000004708: 0A652D32
	v_mul_f32_e32 v51, v51, v151                               // 00000000470C: 0A672F33
	v_mul_f32_e64 v48, v48, s6                                 // 000000004710: D1050030 00000D30
	v_mul_f32_e64 v49, v49, s6                                 // 000000004718: D1050031 00000D31
	v_mul_f32_e64 v50, v50, s6                                 // 000000004720: D1050032 00000D32
	v_mul_f32_e64 v51, v51, s6                                 // 000000004728: D1050033 00000D33
	v_exp_f32_e32 v48, v48                                     // 000000004730: 7E604130
	v_exp_f32_e32 v49, v49                                     // 000000004734: 7E624131
	v_exp_f32_e32 v50, v50                                     // 000000004738: 7E644132
	v_exp_f32_e32 v51, v51                                     // 00000000473C: 7E664133
	buffer_load_dwordx4 a[44:47], v42, s[12:15], 0 offen       // 000000004740: E05C1000 80832C2A
	s_add_u32 s12, s78, s12                                    // 000000004748: 800C0C4E
	s_addc_u32 s13, 0, s13                                     // 00000000474C: 820D0D80
	v_add_f32_e64 v48, v48, 1.0                                // 000000004750: D1010030 0001E530
	v_add_f32_e64 v49, v49, 1.0                                // 000000004758: D1010031 0001E531
	v_add_f32_e64 v50, v50, 1.0                                // 000000004760: D1010032 0001E532
	v_add_f32_e64 v51, v51, 1.0                                // 000000004768: D1010033 0001E533
	v_rcp_f32_e32 v48, v48                                     // 000000004770: 7E604530
	v_rcp_f32_e32 v49, v49                                     // 000000004774: 7E624531
	v_rcp_f32_e32 v50, v50                                     // 000000004778: 7E644532
	v_rcp_f32_e32 v51, v51                                     // 00000000477C: 7E664533
	v_mul_f32_e32 v148, v148, v48                              // 000000004780: 0B286194
	v_mul_f32_e32 v149, v149, v49                              // 000000004784: 0B2A6395
	v_mul_f32_e32 v150, v150, v50                              // 000000004788: 0B2C6596
	v_mul_f32_e32 v151, v151, v51                              // 00000000478C: 0B2E6797
	s_waitcnt vmcnt(16)                                        // 000000004790: BF8C4F70
	buffer_load_dwordx4 a[48:51], v39, s[12:15], 0 offen       // 000000004794: E05C1000 80833027
	v_mul_f32_e32 v48, v152, v152                              // 00000000479C: 0A613198
	v_mul_f32_e32 v49, v153, v153                              // 0000000047A0: 0A633399
	v_mul_f32_e32 v50, v154, v154                              // 0000000047A4: 0A65359A
	v_mul_f32_e32 v51, v155, v155                              // 0000000047A8: 0A67379B
	v_fma_f32 v48, v48, s77, v1                                // 0000000047AC: D1CB0030 04049B30
	v_fma_f32 v49, v49, s77, v1                                // 0000000047B4: D1CB0031 04049B31
	v_fma_f32 v50, v50, s77, v1                                // 0000000047BC: D1CB0032 04049B32
	v_fma_f32 v51, v51, s77, v1                                // 0000000047C4: D1CB0033 04049B33
	v_mul_f32_e32 v48, v48, v152                               // 0000000047CC: 0A613130
	v_mul_f32_e32 v49, v49, v153                               // 0000000047D0: 0A633331
	v_mul_f32_e32 v50, v50, v154                               // 0000000047D4: 0A653532
	v_mul_f32_e32 v51, v51, v155                               // 0000000047D8: 0A673733
	v_mul_f32_e64 v48, v48, s6                                 // 0000000047DC: D1050030 00000D30
	v_mul_f32_e64 v49, v49, s6                                 // 0000000047E4: D1050031 00000D31
	v_mul_f32_e64 v50, v50, s6                                 // 0000000047EC: D1050032 00000D32
	v_mul_f32_e64 v51, v51, s6                                 // 0000000047F4: D1050033 00000D33
	v_exp_f32_e32 v48, v48                                     // 0000000047FC: 7E604130
	v_exp_f32_e32 v49, v49                                     // 000000004800: 7E624131
	v_exp_f32_e32 v50, v50                                     // 000000004804: 7E644132
	v_exp_f32_e32 v51, v51                                     // 000000004808: 7E664133
	buffer_load_dwordx4 a[52:55], v40, s[12:15], 0 offen       // 00000000480C: E05C1000 80833428
	v_add_f32_e64 v48, v48, 1.0                                // 000000004814: D1010030 0001E530
	v_add_f32_e64 v49, v49, 1.0                                // 00000000481C: D1010031 0001E531
	v_add_f32_e64 v50, v50, 1.0                                // 000000004824: D1010032 0001E532
	v_add_f32_e64 v51, v51, 1.0                                // 00000000482C: D1010033 0001E533
	v_rcp_f32_e32 v48, v48                                     // 000000004834: 7E604530
	v_rcp_f32_e32 v49, v49                                     // 000000004838: 7E624531
	v_rcp_f32_e32 v50, v50                                     // 00000000483C: 7E644532
	v_rcp_f32_e32 v51, v51                                     // 000000004840: 7E664533
	v_mul_f32_e32 v152, v152, v48                              // 000000004844: 0B306198
	v_mul_f32_e32 v153, v153, v49                              // 000000004848: 0B326399
	v_mul_f32_e32 v154, v154, v50                              // 00000000484C: 0B34659A
	v_mul_f32_e32 v155, v155, v51                              // 000000004850: 0B36679B
	buffer_load_dwordx4 a[56:59], v41, s[12:15], 0 offen       // 000000004854: E05C1000 80833829
	v_mul_f32_e32 v48, v156, v156                              // 00000000485C: 0A61399C
	v_mul_f32_e32 v49, v157, v157                              // 000000004860: 0A633B9D
	v_mul_f32_e32 v50, v158, v158                              // 000000004864: 0A653D9E
	v_mul_f32_e32 v51, v159, v159                              // 000000004868: 0A673F9F
	v_fma_f32 v48, v48, s77, v1                                // 00000000486C: D1CB0030 04049B30
	v_fma_f32 v49, v49, s77, v1                                // 000000004874: D1CB0031 04049B31
	v_fma_f32 v50, v50, s77, v1                                // 00000000487C: D1CB0032 04049B32
	v_fma_f32 v51, v51, s77, v1                                // 000000004884: D1CB0033 04049B33
	v_mul_f32_e32 v48, v48, v156                               // 00000000488C: 0A613930
	v_mul_f32_e32 v49, v49, v157                               // 000000004890: 0A633B31
	v_mul_f32_e32 v50, v50, v158                               // 000000004894: 0A653D32
	v_mul_f32_e32 v51, v51, v159                               // 000000004898: 0A673F33
	v_mul_f32_e64 v48, v48, s6                                 // 00000000489C: D1050030 00000D30
	v_mul_f32_e64 v49, v49, s6                                 // 0000000048A4: D1050031 00000D31
	v_mul_f32_e64 v50, v50, s6                                 // 0000000048AC: D1050032 00000D32
	v_mul_f32_e64 v51, v51, s6                                 // 0000000048B4: D1050033 00000D33
	v_exp_f32_e32 v48, v48                                     // 0000000048BC: 7E604130
	v_exp_f32_e32 v49, v49                                     // 0000000048C0: 7E624131
	v_exp_f32_e32 v50, v50                                     // 0000000048C4: 7E644132
	v_exp_f32_e32 v51, v51                                     // 0000000048C8: 7E664133
	buffer_load_dwordx4 a[60:63], v42, s[12:15], 0 offen       // 0000000048CC: E05C1000 80833C2A
	s_add_u32 s12, s78, s12                                    // 0000000048D4: 800C0C4E
	s_addc_u32 s13, 0, s13                                     // 0000000048D8: 820D0D80
	v_add_f32_e64 v48, v48, 1.0                                // 0000000048DC: D1010030 0001E530
	v_add_f32_e64 v49, v49, 1.0                                // 0000000048E4: D1010031 0001E531
	v_add_f32_e64 v50, v50, 1.0                                // 0000000048EC: D1010032 0001E532
	v_add_f32_e64 v51, v51, 1.0                                // 0000000048F4: D1010033 0001E533
	v_rcp_f32_e32 v48, v48                                     // 0000000048FC: 7E604530
	v_rcp_f32_e32 v49, v49                                     // 000000004900: 7E624531
	v_rcp_f32_e32 v50, v50                                     // 000000004904: 7E644532
	v_rcp_f32_e32 v51, v51                                     // 000000004908: 7E664533
	v_mul_f32_e32 v156, v156, v48                              // 00000000490C: 0B38619C
	v_mul_f32_e32 v157, v157, v49                              // 000000004910: 0B3A639D
	v_mul_f32_e32 v158, v158, v50                              // 000000004914: 0B3C659E
	v_mul_f32_e32 v159, v159, v51                              // 000000004918: 0B3E679F
	s_waitcnt vmcnt(16)                                        // 00000000491C: BF8C4F70
	buffer_load_dwordx4 a[64:67], v39, s[12:15], 0 offen       // 000000004920: E05C1000 80834027
	v_mul_f32_e32 v48, v160, v160                              // 000000004928: 0A6141A0
	v_mul_f32_e32 v49, v161, v161                              // 00000000492C: 0A6343A1
	v_mul_f32_e32 v50, v162, v162                              // 000000004930: 0A6545A2
	v_mul_f32_e32 v51, v163, v163                              // 000000004934: 0A6747A3
	v_fma_f32 v48, v48, s77, v1                                // 000000004938: D1CB0030 04049B30
	v_fma_f32 v49, v49, s77, v1                                // 000000004940: D1CB0031 04049B31
	v_fma_f32 v50, v50, s77, v1                                // 000000004948: D1CB0032 04049B32
	v_fma_f32 v51, v51, s77, v1                                // 000000004950: D1CB0033 04049B33
	v_mul_f32_e32 v48, v48, v160                               // 000000004958: 0A614130
	v_mul_f32_e32 v49, v49, v161                               // 00000000495C: 0A634331
	v_mul_f32_e32 v50, v50, v162                               // 000000004960: 0A654532
	v_mul_f32_e32 v51, v51, v163                               // 000000004964: 0A674733
	v_mul_f32_e64 v48, v48, s6                                 // 000000004968: D1050030 00000D30
	v_mul_f32_e64 v49, v49, s6                                 // 000000004970: D1050031 00000D31
	v_mul_f32_e64 v50, v50, s6                                 // 000000004978: D1050032 00000D32
	v_mul_f32_e64 v51, v51, s6                                 // 000000004980: D1050033 00000D33
	v_exp_f32_e32 v48, v48                                     // 000000004988: 7E604130
	v_exp_f32_e32 v49, v49                                     // 00000000498C: 7E624131
	v_exp_f32_e32 v50, v50                                     // 000000004990: 7E644132
	v_exp_f32_e32 v51, v51                                     // 000000004994: 7E664133
	buffer_load_dwordx4 a[68:71], v40, s[12:15], 0 offen       // 000000004998: E05C1000 80834428
	v_add_f32_e64 v48, v48, 1.0                                // 0000000049A0: D1010030 0001E530
	v_add_f32_e64 v49, v49, 1.0                                // 0000000049A8: D1010031 0001E531
	v_add_f32_e64 v50, v50, 1.0                                // 0000000049B0: D1010032 0001E532
	v_add_f32_e64 v51, v51, 1.0                                // 0000000049B8: D1010033 0001E533
	v_rcp_f32_e32 v48, v48                                     // 0000000049C0: 7E604530
	v_rcp_f32_e32 v49, v49                                     // 0000000049C4: 7E624531
	v_rcp_f32_e32 v50, v50                                     // 0000000049C8: 7E644532
	v_rcp_f32_e32 v51, v51                                     // 0000000049CC: 7E664533
	v_mul_f32_e32 v160, v160, v48                              // 0000000049D0: 0B4061A0
	v_mul_f32_e32 v161, v161, v49                              // 0000000049D4: 0B4263A1
	v_mul_f32_e32 v162, v162, v50                              // 0000000049D8: 0B4465A2
	v_mul_f32_e32 v163, v163, v51                              // 0000000049DC: 0B4667A3
	buffer_load_dwordx4 a[72:75], v41, s[12:15], 0 offen       // 0000000049E0: E05C1000 80834829
	v_mul_f32_e32 v48, v164, v164                              // 0000000049E8: 0A6149A4
	v_mul_f32_e32 v49, v165, v165                              // 0000000049EC: 0A634BA5
	v_mul_f32_e32 v50, v166, v166                              // 0000000049F0: 0A654DA6
	v_mul_f32_e32 v51, v167, v167                              // 0000000049F4: 0A674FA7
	v_fma_f32 v48, v48, s77, v1                                // 0000000049F8: D1CB0030 04049B30
	v_fma_f32 v49, v49, s77, v1                                // 000000004A00: D1CB0031 04049B31
	v_fma_f32 v50, v50, s77, v1                                // 000000004A08: D1CB0032 04049B32
	v_fma_f32 v51, v51, s77, v1                                // 000000004A10: D1CB0033 04049B33
	v_mul_f32_e32 v48, v48, v164                               // 000000004A18: 0A614930
	v_mul_f32_e32 v49, v49, v165                               // 000000004A1C: 0A634B31
	v_mul_f32_e32 v50, v50, v166                               // 000000004A20: 0A654D32
	v_mul_f32_e32 v51, v51, v167                               // 000000004A24: 0A674F33
	v_mul_f32_e64 v48, v48, s6                                 // 000000004A28: D1050030 00000D30
	v_mul_f32_e64 v49, v49, s6                                 // 000000004A30: D1050031 00000D31
	v_mul_f32_e64 v50, v50, s6                                 // 000000004A38: D1050032 00000D32
	v_mul_f32_e64 v51, v51, s6                                 // 000000004A40: D1050033 00000D33
	v_exp_f32_e32 v48, v48                                     // 000000004A48: 7E604130
	v_exp_f32_e32 v49, v49                                     // 000000004A4C: 7E624131
	v_exp_f32_e32 v50, v50                                     // 000000004A50: 7E644132
	v_exp_f32_e32 v51, v51                                     // 000000004A54: 7E664133
	buffer_load_dwordx4 a[76:79], v42, s[12:15], 0 offen       // 000000004A58: E05C1000 80834C2A
	v_add_f32_e64 v48, v48, 1.0                                // 000000004A60: D1010030 0001E530
	v_add_f32_e64 v49, v49, 1.0                                // 000000004A68: D1010031 0001E531
	v_add_f32_e64 v50, v50, 1.0                                // 000000004A70: D1010032 0001E532
	v_add_f32_e64 v51, v51, 1.0                                // 000000004A78: D1010033 0001E533
	v_rcp_f32_e32 v48, v48                                     // 000000004A80: 7E604530
	v_rcp_f32_e32 v49, v49                                     // 000000004A84: 7E624531
	v_rcp_f32_e32 v50, v50                                     // 000000004A88: 7E644532
	v_rcp_f32_e32 v51, v51                                     // 000000004A8C: 7E664533
	v_mul_f32_e32 v164, v164, v48                              // 000000004A90: 0B4861A4
	v_mul_f32_e32 v165, v165, v49                              // 000000004A94: 0B4A63A5
	v_mul_f32_e32 v166, v166, v50                              // 000000004A98: 0B4C65A6
	v_mul_f32_e32 v167, v167, v51                              // 000000004A9C: 0B4E67A7
	v_mul_f32_dpp v128, v18, v128 row_newbcast:0 row_mask:0xf bank_mask:0xf// 000000004AA0: 0B0100FA FF015012
	v_mul_f32_dpp v129, v18, v129 row_newbcast:1 row_mask:0xf bank_mask:0xf// 000000004AA8: 0B0302FA FF015112
	v_mul_f32_dpp v130, v18, v130 row_newbcast:2 row_mask:0xf bank_mask:0xf// 000000004AB0: 0B0504FA FF015212
	v_mul_f32_dpp v131, v18, v131 row_newbcast:3 row_mask:0xf bank_mask:0xf// 000000004AB8: 0B0706FA FF015312
	v_mul_f32_dpp v132, v18, v132 row_newbcast:0 row_mask:0xf bank_mask:0xf// 000000004AC0: 0B0908FA FF015012
	v_mul_f32_dpp v133, v18, v133 row_newbcast:1 row_mask:0xf bank_mask:0xf// 000000004AC8: 0B0B0AFA FF015112
	v_mul_f32_dpp v134, v18, v134 row_newbcast:2 row_mask:0xf bank_mask:0xf// 000000004AD0: 0B0D0CFA FF015212
	v_mul_f32_dpp v135, v18, v135 row_newbcast:3 row_mask:0xf bank_mask:0xf// 000000004AD8: 0B0F0EFA FF015312
	v_mul_f32_dpp v136, v18, v136 row_newbcast:4 row_mask:0xf bank_mask:0xf// 000000004AE0: 0B1110FA FF015412
	v_mul_f32_dpp v137, v18, v137 row_newbcast:5 row_mask:0xf bank_mask:0xf// 000000004AE8: 0B1312FA FF015512
	v_mul_f32_dpp v138, v18, v138 row_newbcast:6 row_mask:0xf bank_mask:0xf// 000000004AF0: 0B1514FA FF015612
	v_mul_f32_dpp v139, v18, v139 row_newbcast:7 row_mask:0xf bank_mask:0xf// 000000004AF8: 0B1716FA FF015712
	v_mul_f32_dpp v140, v18, v140 row_newbcast:4 row_mask:0xf bank_mask:0xf// 000000004B00: 0B1918FA FF015412
	v_mul_f32_dpp v141, v18, v141 row_newbcast:5 row_mask:0xf bank_mask:0xf// 000000004B08: 0B1B1AFA FF015512
	v_mul_f32_dpp v142, v18, v142 row_newbcast:6 row_mask:0xf bank_mask:0xf// 000000004B10: 0B1D1CFA FF015612
	v_mul_f32_dpp v143, v18, v143 row_newbcast:7 row_mask:0xf bank_mask:0xf// 000000004B18: 0B1F1EFA FF015712
	v_mul_f32_dpp v144, v18, v144 row_newbcast:8 row_mask:0xf bank_mask:0xf// 000000004B20: 0B2120FA FF015812
	v_mul_f32_dpp v145, v18, v145 row_newbcast:9 row_mask:0xf bank_mask:0xf// 000000004B28: 0B2322FA FF015912
	v_mul_f32_dpp v146, v18, v146 row_newbcast:10 row_mask:0xf bank_mask:0xf// 000000004B30: 0B2524FA FF015A12
	v_mul_f32_dpp v147, v18, v147 row_newbcast:11 row_mask:0xf bank_mask:0xf// 000000004B38: 0B2726FA FF015B12
	v_mul_f32_dpp v148, v18, v148 row_newbcast:8 row_mask:0xf bank_mask:0xf// 000000004B40: 0B2928FA FF015812
	v_mul_f32_dpp v149, v18, v149 row_newbcast:9 row_mask:0xf bank_mask:0xf// 000000004B48: 0B2B2AFA FF015912
	v_mul_f32_dpp v150, v18, v150 row_newbcast:10 row_mask:0xf bank_mask:0xf// 000000004B50: 0B2D2CFA FF015A12
	v_mul_f32_dpp v151, v18, v151 row_newbcast:11 row_mask:0xf bank_mask:0xf// 000000004B58: 0B2F2EFA FF015B12
	v_mul_f32_dpp v152, v18, v152 row_newbcast:12 row_mask:0xf bank_mask:0xf// 000000004B60: 0B3130FA FF015C12
	v_mul_f32_dpp v153, v18, v153 row_newbcast:13 row_mask:0xf bank_mask:0xf// 000000004B68: 0B3332FA FF015D12
	v_mul_f32_dpp v154, v18, v154 row_newbcast:14 row_mask:0xf bank_mask:0xf// 000000004B70: 0B3534FA FF015E12
	v_mul_f32_dpp v155, v18, v155 row_newbcast:15 row_mask:0xf bank_mask:0xf// 000000004B78: 0B3736FA FF015F12
	v_mul_f32_dpp v156, v18, v156 row_newbcast:12 row_mask:0xf bank_mask:0xf// 000000004B80: 0B3938FA FF015C12
	v_mul_f32_dpp v157, v18, v157 row_newbcast:13 row_mask:0xf bank_mask:0xf// 000000004B88: 0B3B3AFA FF015D12
	v_mul_f32_dpp v158, v18, v158 row_newbcast:14 row_mask:0xf bank_mask:0xf// 000000004B90: 0B3D3CFA FF015E12
	v_mul_f32_dpp v159, v18, v159 row_newbcast:15 row_mask:0xf bank_mask:0xf// 000000004B98: 0B3F3EFA FF015F12
	v_mul_f32_dpp v160, v19, v160 row_newbcast:0 row_mask:0xf bank_mask:0xf// 000000004BA0: 0B4140FA FF015013
	v_mul_f32_dpp v161, v19, v161 row_newbcast:1 row_mask:0xf bank_mask:0xf// 000000004BA8: 0B4342FA FF015113
	v_mul_f32_dpp v162, v19, v162 row_newbcast:2 row_mask:0xf bank_mask:0xf// 000000004BB0: 0B4544FA FF015213
	v_mul_f32_dpp v163, v19, v163 row_newbcast:3 row_mask:0xf bank_mask:0xf// 000000004BB8: 0B4746FA FF015313
	v_mul_f32_dpp v164, v19, v164 row_newbcast:0 row_mask:0xf bank_mask:0xf// 000000004BC0: 0B4948FA FF015013
	v_mul_f32_dpp v165, v19, v165 row_newbcast:1 row_mask:0xf bank_mask:0xf// 000000004BC8: 0B4B4AFA FF015113
	v_mul_f32_dpp v166, v19, v166 row_newbcast:2 row_mask:0xf bank_mask:0xf// 000000004BD0: 0B4D4CFA FF015213
	v_mul_f32_dpp v167, v19, v167 row_newbcast:3 row_mask:0xf bank_mask:0xf// 000000004BD8: 0B4F4EFA FF015313
	buffer_load_dword v12, v5, s[16:19], 0 offen               // 000000004BE0: E0501000 80040C05
	v_mov_b32_e32 v22, 0x358637bd                              // 000000004BE8: 7E2C02FF 358637BD
	v_mov_b32_e32 v23, 0x358637bd                              // 000000004BF0: 7E2E02FF 358637BD
	v_max3_f32 v22, |v128|, |v129|, v22                        // 000000004BF8: D1D30316 045B0380
	v_max3_f32 v22, |v130|, |v131|, v22                        // 000000004C00: D1D30316 045B0782
	v_max3_f32 v23, |v132|, |v133|, v23                        // 000000004C08: D1D30317 045F0B84
	v_max3_f32 v23, |v134|, |v135|, v23                        // 000000004C10: D1D30317 045F0F86
	v_max3_f32 v22, |v136|, |v137|, v22                        // 000000004C18: D1D30316 045B1388
	v_max3_f32 v22, |v138|, |v139|, v22                        // 000000004C20: D1D30316 045B178A
	v_max3_f32 v23, |v140|, |v141|, v23                        // 000000004C28: D1D30317 045F1B8C
	v_max3_f32 v23, |v142|, |v143|, v23                        // 000000004C30: D1D30317 045F1F8E
	v_max3_f32 v22, |v144|, |v145|, v22                        // 000000004C38: D1D30316 045B2390
	v_max3_f32 v22, |v146|, |v147|, v22                        // 000000004C40: D1D30316 045B2792
	v_max3_f32 v23, |v148|, |v149|, v23                        // 000000004C48: D1D30317 045F2B94
	v_max3_f32 v23, |v150|, |v151|, v23                        // 000000004C50: D1D30317 045F2F96
	v_max3_f32 v22, |v152|, |v153|, v22                        // 000000004C58: D1D30316 045B3398
	v_max3_f32 v22, |v154|, |v155|, v22                        // 000000004C60: D1D30316 045B379A
	v_max3_f32 v23, |v156|, |v157|, v23                        // 000000004C68: D1D30317 045F3B9C
	v_max3_f32 v23, |v158|, |v159|, v23                        // 000000004C70: D1D30317 045F3F9E
	v_max3_f32 v22, |v160|, |v161|, v22                        // 000000004C78: D1D30316 045B43A0
	v_max3_f32 v22, |v162|, |v163|, v22                        // 000000004C80: D1D30316 045B47A2
	v_max3_f32 v23, |v164|, |v165|, v23                        // 000000004C88: D1D30317 045F4BA4
	v_max3_f32 v23, |v166|, |v167|, v23                        // 000000004C90: D1D30317 045F4FA6
	v_lshlrev_b32_e32 v48, 3, v0                               // 000000004C98: 24600083
	s_mul_i32 s60, 0x200, s7                                   // 000000004C9C: 923C07FF 00000200
	v_add_u32_e32 v48, s60, v48                                // 000000004CA4: 6860603C
	ds_write_b64 v48, v[22:23] offset:16640                    // 000000004CA8: D89A4100 00001630
	s_waitcnt lgkmcnt(0)                                       // 000000004CB0: BF8CC07F
	s_barrier                                                  // 000000004CB4: BF8A0000
	v_and_b32_e32 v48, 15, v0                                  // 000000004CB8: 2660008F
	v_lshlrev_b32_e32 v48, 3, v48                              // 000000004CBC: 24606083
	ds_read_b64 v[96:97], v48 offset:16640                     // 000000004CC0: D8EC4100 60000030
	ds_read_b64 v[98:99], v48 offset:16768                     // 000000004CC8: D8EC4180 62000030
	ds_read_b64 v[100:101], v48 offset:16896                   // 000000004CD0: D8EC4200 64000030
	ds_read_b64 v[102:103], v48 offset:17024                   // 000000004CD8: D8EC4280 66000030
	ds_read_b64 v[104:105], v48 offset:17152                   // 000000004CE0: D8EC4300 68000030
	ds_read_b64 v[106:107], v48 offset:17280                   // 000000004CE8: D8EC4380 6A000030
	ds_read_b64 v[108:109], v48 offset:17408                   // 000000004CF0: D8EC4400 6C000030
	ds_read_b64 v[110:111], v48 offset:17536                   // 000000004CF8: D8EC4480 6E000030
	ds_read_b64 v[112:113], v48 offset:17664                   // 000000004D00: D8EC4500 70000030
	ds_read_b64 v[114:115], v48 offset:17792                   // 000000004D08: D8EC4580 72000030
	ds_read_b64 v[116:117], v48 offset:17920                   // 000000004D10: D8EC4600 74000030
	ds_read_b64 v[118:119], v48 offset:18048                   // 000000004D18: D8EC4680 76000030
	ds_read_b64 v[120:121], v48 offset:18176                   // 000000004D20: D8EC4700 78000030
	ds_read_b64 v[122:123], v48 offset:18304                   // 000000004D28: D8EC4780 7A000030
	ds_read_b64 v[124:125], v48 offset:18432                   // 000000004D30: D8EC4800 7C000030
	ds_read_b64 v[126:127], v48 offset:18560                   // 000000004D38: D8EC4880 7E000030
	s_waitcnt lgkmcnt(0)                                       // 000000004D40: BF8CC07F
	v_max3_f32 v22, |v96|, |v98|, v22                          // 000000004D44: D1D30316 045AC560
	v_max3_f32 v23, |v97|, |v99|, v23                          // 000000004D4C: D1D30317 045EC761
	v_max3_f32 v22, |v100|, |v102|, v22                        // 000000004D54: D1D30316 045ACD64
	v_max3_f32 v23, |v101|, |v103|, v23                        // 000000004D5C: D1D30317 045ECF65
	v_max3_f32 v22, |v104|, |v106|, v22                        // 000000004D64: D1D30316 045AD568
	v_max3_f32 v23, |v105|, |v107|, v23                        // 000000004D6C: D1D30317 045ED769
	v_max3_f32 v22, |v108|, |v110|, v22                        // 000000004D74: D1D30316 045ADD6C
	v_max3_f32 v23, |v109|, |v111|, v23                        // 000000004D7C: D1D30317 045EDF6D
	v_max3_f32 v22, |v112|, |v114|, v22                        // 000000004D84: D1D30316 045AE570
	v_max3_f32 v23, |v113|, |v115|, v23                        // 000000004D8C: D1D30317 045EE771
	v_max3_f32 v22, |v116|, |v118|, v22                        // 000000004D94: D1D30316 045AED74
	v_max3_f32 v23, |v117|, |v119|, v23                        // 000000004D9C: D1D30317 045EEF75
	v_max3_f32 v22, |v120|, |v122|, v22                        // 000000004DA4: D1D30316 045AF578
	v_max3_f32 v23, |v121|, |v123|, v23                        // 000000004DAC: D1D30317 045EF779
	v_max3_f32 v22, |v124|, |v126|, v22                        // 000000004DB4: D1D30316 045AFD7C
	v_max3_f32 v23, |v125|, |v127|, v23                        // 000000004DBC: D1D30317 045EFF7D
	v_rcp_f32_e32 v22, v22                                     // 000000004DC4: 7E2C4516
	v_rcp_f32_e32 v23, v23                                     // 000000004DC8: 7E2E4517
	v_mul_f32_e32 v22, 0x42fe0000, v22                         // 000000004DCC: 0A2C2CFF 42FE0000
	v_mul_f32_e32 v23, 0x42fe0000, v23                         // 000000004DD4: 0A2E2EFF 42FE0000
	v_mul_f32_e32 v128, v22, v128                              // 000000004DDC: 0B010116
	v_mul_f32_e32 v129, v22, v129                              // 000000004DE0: 0B030316
	v_mul_f32_e32 v130, v22, v130                              // 000000004DE4: 0B050516
	v_mul_f32_e32 v131, v22, v131                              // 000000004DE8: 0B070716
	v_cvt_i32_f32_e32 v128, v128                               // 000000004DEC: 7F001180
	v_cvt_i32_f32_e32 v129, v129                               // 000000004DF0: 7F021181
	v_cvt_i32_f32_e32 v130, v130                               // 000000004DF4: 7F041182
	v_cvt_i32_f32_e32 v131, v131                               // 000000004DF8: 7F061183
	v_perm_b32 v128, v129, v128, s53                           // 000000004DFC: D1ED0080 00D70181
	v_perm_b32 v128, v130, v128, s54                           // 000000004E04: D1ED0080 00DB0182
	v_perm_b32 v128, v131, v128, s55                           // 000000004E0C: D1ED0080 00DF0183
	v_mul_f32_e32 v132, v23, v132                              // 000000004E14: 0B090917
	v_mul_f32_e32 v133, v23, v133                              // 000000004E18: 0B0B0B17
	v_mul_f32_e32 v134, v23, v134                              // 000000004E1C: 0B0D0D17
	v_mul_f32_e32 v135, v23, v135                              // 000000004E20: 0B0F0F17
	v_cvt_i32_f32_e32 v132, v132                               // 000000004E24: 7F081184
	v_cvt_i32_f32_e32 v133, v133                               // 000000004E28: 7F0A1185
	v_cvt_i32_f32_e32 v134, v134                               // 000000004E2C: 7F0C1186
	v_cvt_i32_f32_e32 v135, v135                               // 000000004E30: 7F0E1187
	v_perm_b32 v129, v133, v132, s53                           // 000000004E34: D1ED0081 00D70985
	v_perm_b32 v129, v134, v129, s54                           // 000000004E3C: D1ED0081 00DB0386
	v_perm_b32 v129, v135, v129, s55                           // 000000004E44: D1ED0081 00DF0387
	v_mul_f32_e32 v136, v22, v136                              // 000000004E4C: 0B111116
	v_mul_f32_e32 v137, v22, v137                              // 000000004E50: 0B131316
	v_mul_f32_e32 v138, v22, v138                              // 000000004E54: 0B151516
	v_mul_f32_e32 v139, v22, v139                              // 000000004E58: 0B171716
	v_cvt_i32_f32_e32 v136, v136                               // 000000004E5C: 7F101188
	v_cvt_i32_f32_e32 v137, v137                               // 000000004E60: 7F121189
	v_cvt_i32_f32_e32 v138, v138                               // 000000004E64: 7F14118A
	v_cvt_i32_f32_e32 v139, v139                               // 000000004E68: 7F16118B
	v_perm_b32 v130, v137, v136, s53                           // 000000004E6C: D1ED0082 00D71189
	v_perm_b32 v130, v138, v130, s54                           // 000000004E74: D1ED0082 00DB058A
	v_perm_b32 v130, v139, v130, s55                           // 000000004E7C: D1ED0082 00DF058B
	v_mul_f32_e32 v140, v23, v140                              // 000000004E84: 0B191917
	v_mul_f32_e32 v141, v23, v141                              // 000000004E88: 0B1B1B17
	v_mul_f32_e32 v142, v23, v142                              // 000000004E8C: 0B1D1D17
	v_mul_f32_e32 v143, v23, v143                              // 000000004E90: 0B1F1F17
	v_cvt_i32_f32_e32 v140, v140                               // 000000004E94: 7F18118C
	v_cvt_i32_f32_e32 v141, v141                               // 000000004E98: 7F1A118D
	v_cvt_i32_f32_e32 v142, v142                               // 000000004E9C: 7F1C118E
	v_cvt_i32_f32_e32 v143, v143                               // 000000004EA0: 7F1E118F
	v_perm_b32 v131, v141, v140, s53                           // 000000004EA4: D1ED0083 00D7198D
	v_perm_b32 v131, v142, v131, s54                           // 000000004EAC: D1ED0083 00DB078E
	v_perm_b32 v131, v143, v131, s55                           // 000000004EB4: D1ED0083 00DF078F
	v_mul_f32_e32 v144, v22, v144                              // 000000004EBC: 0B212116
	v_mul_f32_e32 v145, v22, v145                              // 000000004EC0: 0B232316
	v_mul_f32_e32 v146, v22, v146                              // 000000004EC4: 0B252516
	v_mul_f32_e32 v147, v22, v147                              // 000000004EC8: 0B272716
	v_cvt_i32_f32_e32 v144, v144                               // 000000004ECC: 7F201190
	v_cvt_i32_f32_e32 v145, v145                               // 000000004ED0: 7F221191
	v_cvt_i32_f32_e32 v146, v146                               // 000000004ED4: 7F241192
	v_cvt_i32_f32_e32 v147, v147                               // 000000004ED8: 7F261193
	v_perm_b32 v132, v145, v144, s53                           // 000000004EDC: D1ED0084 00D72191
	v_perm_b32 v132, v146, v132, s54                           // 000000004EE4: D1ED0084 00DB0992
	v_perm_b32 v132, v147, v132, s55                           // 000000004EEC: D1ED0084 00DF0993
	v_mul_f32_e32 v148, v23, v148                              // 000000004EF4: 0B292917
	v_mul_f32_e32 v149, v23, v149                              // 000000004EF8: 0B2B2B17
	v_mul_f32_e32 v150, v23, v150                              // 000000004EFC: 0B2D2D17
	v_mul_f32_e32 v151, v23, v151                              // 000000004F00: 0B2F2F17
	v_cvt_i32_f32_e32 v148, v148                               // 000000004F04: 7F281194
	v_cvt_i32_f32_e32 v149, v149                               // 000000004F08: 7F2A1195
	v_cvt_i32_f32_e32 v150, v150                               // 000000004F0C: 7F2C1196
	v_cvt_i32_f32_e32 v151, v151                               // 000000004F10: 7F2E1197
	v_perm_b32 v133, v149, v148, s53                           // 000000004F14: D1ED0085 00D72995
	v_perm_b32 v133, v150, v133, s54                           // 000000004F1C: D1ED0085 00DB0B96
	v_perm_b32 v133, v151, v133, s55                           // 000000004F24: D1ED0085 00DF0B97
	v_mul_f32_e32 v152, v22, v152                              // 000000004F2C: 0B313116
	v_mul_f32_e32 v153, v22, v153                              // 000000004F30: 0B333316
	v_mul_f32_e32 v154, v22, v154                              // 000000004F34: 0B353516
	v_mul_f32_e32 v155, v22, v155                              // 000000004F38: 0B373716
	v_cvt_i32_f32_e32 v152, v152                               // 000000004F3C: 7F301198
	v_cvt_i32_f32_e32 v153, v153                               // 000000004F40: 7F321199
	v_cvt_i32_f32_e32 v154, v154                               // 000000004F44: 7F34119A
	v_cvt_i32_f32_e32 v155, v155                               // 000000004F48: 7F36119B
	v_perm_b32 v134, v153, v152, s53                           // 000000004F4C: D1ED0086 00D73199
	v_perm_b32 v134, v154, v134, s54                           // 000000004F54: D1ED0086 00DB0D9A
	v_perm_b32 v134, v155, v134, s55                           // 000000004F5C: D1ED0086 00DF0D9B
	v_mul_f32_e32 v156, v23, v156                              // 000000004F64: 0B393917
	v_mul_f32_e32 v157, v23, v157                              // 000000004F68: 0B3B3B17
	v_mul_f32_e32 v158, v23, v158                              // 000000004F6C: 0B3D3D17
	v_mul_f32_e32 v159, v23, v159                              // 000000004F70: 0B3F3F17
	v_cvt_i32_f32_e32 v156, v156                               // 000000004F74: 7F38119C
	v_cvt_i32_f32_e32 v157, v157                               // 000000004F78: 7F3A119D
	v_cvt_i32_f32_e32 v158, v158                               // 000000004F7C: 7F3C119E
	v_cvt_i32_f32_e32 v159, v159                               // 000000004F80: 7F3E119F
	v_perm_b32 v135, v157, v156, s53                           // 000000004F84: D1ED0087 00D7399D
	v_perm_b32 v135, v158, v135, s54                           // 000000004F8C: D1ED0087 00DB0F9E
	v_perm_b32 v135, v159, v135, s55                           // 000000004F94: D1ED0087 00DF0F9F
	v_mul_f32_e32 v160, v22, v160                              // 000000004F9C: 0B414116
	v_mul_f32_e32 v161, v22, v161                              // 000000004FA0: 0B434316
	v_mul_f32_e32 v162, v22, v162                              // 000000004FA4: 0B454516
	v_mul_f32_e32 v163, v22, v163                              // 000000004FA8: 0B474716
	v_cvt_i32_f32_e32 v160, v160                               // 000000004FAC: 7F4011A0
	v_cvt_i32_f32_e32 v161, v161                               // 000000004FB0: 7F4211A1
	v_cvt_i32_f32_e32 v162, v162                               // 000000004FB4: 7F4411A2
	v_cvt_i32_f32_e32 v163, v163                               // 000000004FB8: 7F4611A3
	v_perm_b32 v136, v161, v160, s53                           // 000000004FBC: D1ED0088 00D741A1
	v_perm_b32 v136, v162, v136, s54                           // 000000004FC4: D1ED0088 00DB11A2
	v_perm_b32 v136, v163, v136, s55                           // 000000004FCC: D1ED0088 00DF11A3
	v_mul_f32_e32 v164, v23, v164                              // 000000004FD4: 0B494917
	v_mul_f32_e32 v165, v23, v165                              // 000000004FD8: 0B4B4B17
	v_mul_f32_e32 v166, v23, v166                              // 000000004FDC: 0B4D4D17
	v_mul_f32_e32 v167, v23, v167                              // 000000004FE0: 0B4F4F17
	v_cvt_i32_f32_e32 v164, v164                               // 000000004FE4: 7F4811A4
	v_cvt_i32_f32_e32 v165, v165                               // 000000004FE8: 7F4A11A5
	v_cvt_i32_f32_e32 v166, v166                               // 000000004FEC: 7F4C11A6
	v_cvt_i32_f32_e32 v167, v167                               // 000000004FF0: 7F4E11A7
	v_perm_b32 v137, v165, v164, s53                           // 000000004FF4: D1ED0089 00D749A5
	v_perm_b32 v137, v166, v137, s54                           // 000000004FFC: D1ED0089 00DB13A6
	v_perm_b32 v137, v167, v137, s55                           // 000000005004: D1ED0089 00DF13A7
	v_rcp_f32_e32 v24, v22                                     // 00000000500C: 7E304516
	v_rcp_f32_e32 v25, v23                                     // 000000005010: 7E324517
	v_lshrrev_b32_e32 v48, 5, v0                               // 000000005014: 20600085
	v_lshlrev_b32_e32 v49, 5, v48                              // 000000005018: 24626085
	v_and_b32_e32 v48, 31, v0                                  // 00000000501C: 2660009F
	v_lshrrev_b32_e32 v50, 4, v48                              // 000000005020: 20646084
	v_add_u32_e32 v49, v50, v49                                // 000000005024: 68626332
	v_and_b32_e32 v48, 15, v0                                  // 000000005028: 2660008F
	v_lshlrev_b32_e32 v48, 1, v48                              // 00000000502C: 24606081
	v_add_u32_e32 v49, v48, v49                                // 000000005030: 68626330
	v_lshlrev_b32_e32 v48, 2, v49                              // 000000005034: 24606282
	s_mul_i32 s60, 0x100, s7                                   // 000000005038: 923C07FF 00000100
	v_add_u32_e64 v48, v48, s60                                // 000000005040: D1340030 00007930
	ds_write_b32 v48, v128 offset:18688                        // 000000005048: D81A4900 00008030
	ds_write_b32 v48, v129 offset:23808                        // 000000005050: D81A5D00 00008130
	ds_write_b32 v48, v130 offset:19712                        // 000000005058: D81A4D00 00008230
	ds_write_b32 v48, v131 offset:24832                        // 000000005060: D81A6100 00008330
	ds_write_b32 v48, v132 offset:20736                        // 000000005068: D81A5100 00008430
	ds_write_b32 v48, v133 offset:25856                        // 000000005070: D81A6500 00008530
	ds_write_b32 v48, v134 offset:21760                        // 000000005078: D81A5500 00008630
	ds_write_b32 v48, v135 offset:26880                        // 000000005080: D81A6900 00008730
	ds_write_b32 v48, v136 offset:22784                        // 000000005088: D81A5900 00008830
	ds_write_b32 v48, v137 offset:27904                        // 000000005090: D81A6D00 00008930
	s_waitcnt lgkmcnt(0)                                       // 000000005098: BF8CC07F
	s_barrier                                                  // 00000000509C: BF8A0000
	v_lshrrev_b32_e32 v48, 4, v0                               // 0000000050A0: 20600084
	v_lshlrev_b32_e32 v49, 6, v48                              // 0000000050A4: 24626086
	v_and_b32_e32 v48, 15, v0                                  // 0000000050A8: 2660008F
	v_lshlrev_b32_e32 v48, 1, v48                              // 0000000050AC: 24606081
	v_add_u32_e32 v49, v48, v49                                // 0000000050B0: 68626330
	v_lshlrev_b32_e32 v48, 2, v49                              // 0000000050B4: 24606282
	ds_read_b64 v[128:129], v48 offset:18688                   // 0000000050B8: D8EC4900 80000030
	ds_read_b64 v[130:131], v48 offset:18816                   // 0000000050C0: D8EC4980 82000030
	ds_read_b64 v[132:133], v48 offset:19712                   // 0000000050C8: D8EC4D00 84000030
	ds_read_b64 v[134:135], v48 offset:19840                   // 0000000050D0: D8EC4D80 86000030
	ds_read_b64 v[136:137], v48 offset:20736                   // 0000000050D8: D8EC5100 88000030
	ds_read_b64 v[138:139], v48 offset:20864                   // 0000000050E0: D8EC5180 8A000030
	ds_read_b64 v[140:141], v48 offset:21760                   // 0000000050E8: D8EC5500 8C000030
	ds_read_b64 v[142:143], v48 offset:21888                   // 0000000050F0: D8EC5580 8E000030
	ds_read_b64 v[144:145], v48 offset:22784                   // 0000000050F8: D8EC5900 90000030
	ds_read_b64 v[146:147], v48 offset:22912                   // 000000005100: D8EC5980 92000030
	ds_read_b64 v[148:149], v48 offset:23808                   // 000000005108: D8EC5D00 94000030
	ds_read_b64 v[150:151], v48 offset:23936                   // 000000005110: D8EC5D80 96000030
	ds_read_b64 v[152:153], v48 offset:24832                   // 000000005118: D8EC6100 98000030
	ds_read_b64 v[154:155], v48 offset:24960                   // 000000005120: D8EC6180 9A000030
	ds_read_b64 v[156:157], v48 offset:25856                   // 000000005128: D8EC6500 9C000030
	ds_read_b64 v[158:159], v48 offset:25984                   // 000000005130: D8EC6580 9E000030
	ds_read_b64 v[160:161], v48 offset:26880                   // 000000005138: D8EC6900 A0000030
	ds_read_b64 v[162:163], v48 offset:27008                   // 000000005140: D8EC6980 A2000030
	ds_read_b64 v[164:165], v48 offset:27904                   // 000000005148: D8EC6D00 A4000030
	ds_read_b64 v[166:167], v48 offset:28032                   // 000000005150: D8EC6D80 A6000030
	s_add_u32 s12, s56, s12                                    // 000000005158: 800C0C38
	s_addc_u32 s13, 0, s13                                     // 00000000515C: 820D0D80
	s_add_u32 s16, s79, s16                                    // 000000005160: 8010104F
	s_addc_u32 s17, 0, s17                                     // 000000005164: 82111180
	s_mov_b32 s80, 0                                           // 000000005168: BED00080
	s_waitcnt vmcnt(0) expcnt(0) lgkmcnt(0)                    // 00000000516C: BF8C0000

0000000000005170 <label_08DC>:
	s_waitcnt vmcnt(33)                                        // 000000005170: BF8C8F71
	s_barrier                                                  // 000000005174: BF8A0000
	v_mfma_i32_16x16x32_i8 v[168:171], a[0:1], v[128:129], 0   // 000000005178: D3D700A8 0A030100
	v_mfma_i32_16x16x32_i8 v[168:171], a[2:3], v[130:131], v[168:171]// 000000005180: D3D700A8 0EA30502
	buffer_load_dwordx4 a[80:83], v39, s[12:15], 0 offen       // 000000005188: E05C1000 80835027
	v_mfma_i32_16x16x32_i8 v[172:175], a[0:1], v[148:149], 0   // 000000005190: D3D700AC 0A032900
	v_mfma_i32_16x16x32_i8 v[172:175], a[2:3], v[150:151], v[172:175]// 000000005198: D3D700AC 0EB32D02
	v_mfma_i32_16x16x32_i8 v[176:179], a[4:5], v[128:129], 0   // 0000000051A0: D3D700B0 0A030104
	v_mfma_i32_16x16x32_i8 v[176:179], a[6:7], v[130:131], v[176:179]// 0000000051A8: D3D700B0 0EC30506
	buffer_load_dwordx4 a[84:87], v40, s[12:15], 0 offen       // 0000000051B0: E05C1000 80835428
	v_mfma_i32_16x16x32_i8 v[180:183], a[4:5], v[148:149], 0   // 0000000051B8: D3D700B4 0A032904
	v_mfma_i32_16x16x32_i8 v[180:183], a[6:7], v[150:151], v[180:183]// 0000000051C0: D3D700B4 0ED32D06
	v_mfma_i32_16x16x32_i8 v[184:187], a[8:9], v[128:129], 0   // 0000000051C8: D3D700B8 0A030108
	v_mfma_i32_16x16x32_i8 v[184:187], a[10:11], v[130:131], v[184:187]// 0000000051D0: D3D700B8 0EE3050A
	buffer_load_dwordx4 a[88:91], v41, s[12:15], 0 offen       // 0000000051D8: E05C1000 80835829
	v_mfma_i32_16x16x32_i8 v[188:191], a[8:9], v[148:149], 0   // 0000000051E0: D3D700BC 0A032908
	v_mfma_i32_16x16x32_i8 v[188:191], a[10:11], v[150:151], v[188:191]// 0000000051E8: D3D700BC 0EF32D0A
	v_mfma_i32_16x16x32_i8 v[192:195], a[12:13], v[128:129], 0 // 0000000051F0: D3D700C0 0A03010C
	v_mfma_i32_16x16x32_i8 v[192:195], a[14:15], v[130:131], v[192:195]// 0000000051F8: D3D700C0 0F03050E
	buffer_load_dwordx4 a[92:95], v42, s[12:15], 0 offen       // 000000005200: E05C1000 80835C2A
	s_add_u32 s12, s78, s12                                    // 000000005208: 800C0C4E
	s_addc_u32 s13, 0, s13                                     // 00000000520C: 820D0D80
	v_mfma_i32_16x16x32_i8 v[196:199], a[12:13], v[148:149], 0 // 000000005210: D3D700C4 0A03290C
	v_mfma_i32_16x16x32_i8 v[196:199], a[14:15], v[150:151], v[196:199]// 000000005218: D3D700C4 0F132D0E
	s_waitcnt vmcnt(33)                                        // 000000005220: BF8C8F71
	v_mfma_i32_16x16x32_i8 v[168:171], a[16:17], v[132:133], v[168:171]// 000000005224: D3D700A8 0EA30910
	v_mfma_i32_16x16x32_i8 v[168:171], a[18:19], v[134:135], v[168:171]// 00000000522C: D3D700A8 0EA30D12
	buffer_load_dwordx4 a[96:99], v39, s[12:15], 0 offen       // 000000005234: E05C1000 80836027
	v_mfma_i32_16x16x32_i8 v[172:175], a[16:17], v[152:153], v[172:175]// 00000000523C: D3D700AC 0EB33110
	v_mfma_i32_16x16x32_i8 v[172:175], a[18:19], v[154:155], v[172:175]// 000000005244: D3D700AC 0EB33512
	v_mfma_i32_16x16x32_i8 v[176:179], a[20:21], v[132:133], v[176:179]// 00000000524C: D3D700B0 0EC30914
	v_mfma_i32_16x16x32_i8 v[176:179], a[22:23], v[134:135], v[176:179]// 000000005254: D3D700B0 0EC30D16
	buffer_load_dwordx4 a[100:103], v40, s[12:15], 0 offen     // 00000000525C: E05C1000 80836428
	v_mfma_i32_16x16x32_i8 v[180:183], a[20:21], v[152:153], v[180:183]// 000000005264: D3D700B4 0ED33114
	v_mfma_i32_16x16x32_i8 v[180:183], a[22:23], v[154:155], v[180:183]// 00000000526C: D3D700B4 0ED33516
	v_mfma_i32_16x16x32_i8 v[184:187], a[24:25], v[132:133], v[184:187]// 000000005274: D3D700B8 0EE30918
	v_mfma_i32_16x16x32_i8 v[184:187], a[26:27], v[134:135], v[184:187]// 00000000527C: D3D700B8 0EE30D1A
	buffer_load_dwordx4 a[104:107], v41, s[12:15], 0 offen     // 000000005284: E05C1000 80836829
	v_mfma_i32_16x16x32_i8 v[188:191], a[24:25], v[152:153], v[188:191]// 00000000528C: D3D700BC 0EF33118
	v_mfma_i32_16x16x32_i8 v[188:191], a[26:27], v[154:155], v[188:191]// 000000005294: D3D700BC 0EF3351A
	v_mfma_i32_16x16x32_i8 v[192:195], a[28:29], v[132:133], v[192:195]// 00000000529C: D3D700C0 0F03091C
	v_mfma_i32_16x16x32_i8 v[192:195], a[30:31], v[134:135], v[192:195]// 0000000052A4: D3D700C0 0F030D1E
	buffer_load_dwordx4 a[108:111], v42, s[12:15], 0 offen     // 0000000052AC: E05C1000 80836C2A
	s_add_u32 s12, s78, s12                                    // 0000000052B4: 800C0C4E
	s_addc_u32 s13, 0, s13                                     // 0000000052B8: 820D0D80
	v_mfma_i32_16x16x32_i8 v[196:199], a[28:29], v[152:153], v[196:199]// 0000000052BC: D3D700C4 0F13311C
	v_mfma_i32_16x16x32_i8 v[196:199], a[30:31], v[154:155], v[196:199]// 0000000052C4: D3D700C4 0F13351E
	s_waitcnt vmcnt(33)                                        // 0000000052CC: BF8C8F71
	v_mfma_i32_16x16x32_i8 v[168:171], a[32:33], v[136:137], v[168:171]// 0000000052D0: D3D700A8 0EA31120
	v_mfma_i32_16x16x32_i8 v[168:171], a[34:35], v[138:139], v[168:171]// 0000000052D8: D3D700A8 0EA31522
	buffer_load_dwordx4 a[112:115], v39, s[12:15], 0 offen     // 0000000052E0: E05C1000 80837027
	v_mfma_i32_16x16x32_i8 v[172:175], a[32:33], v[156:157], v[172:175]// 0000000052E8: D3D700AC 0EB33920
	v_mfma_i32_16x16x32_i8 v[172:175], a[34:35], v[158:159], v[172:175]// 0000000052F0: D3D700AC 0EB33D22
	v_mfma_i32_16x16x32_i8 v[176:179], a[36:37], v[136:137], v[176:179]// 0000000052F8: D3D700B0 0EC31124
	v_mfma_i32_16x16x32_i8 v[176:179], a[38:39], v[138:139], v[176:179]// 000000005300: D3D700B0 0EC31526
	buffer_load_dwordx4 a[116:119], v40, s[12:15], 0 offen     // 000000005308: E05C1000 80837428
	v_mfma_i32_16x16x32_i8 v[180:183], a[36:37], v[156:157], v[180:183]// 000000005310: D3D700B4 0ED33924
	v_mfma_i32_16x16x32_i8 v[180:183], a[38:39], v[158:159], v[180:183]// 000000005318: D3D700B4 0ED33D26
	v_mfma_i32_16x16x32_i8 v[184:187], a[40:41], v[136:137], v[184:187]// 000000005320: D3D700B8 0EE31128
	v_mfma_i32_16x16x32_i8 v[184:187], a[42:43], v[138:139], v[184:187]// 000000005328: D3D700B8 0EE3152A
	buffer_load_dwordx4 a[120:123], v41, s[12:15], 0 offen     // 000000005330: E05C1000 80837829
	v_mfma_i32_16x16x32_i8 v[188:191], a[40:41], v[156:157], v[188:191]// 000000005338: D3D700BC 0EF33928
	v_mfma_i32_16x16x32_i8 v[188:191], a[42:43], v[158:159], v[188:191]// 000000005340: D3D700BC 0EF33D2A
	v_mfma_i32_16x16x32_i8 v[192:195], a[44:45], v[136:137], v[192:195]// 000000005348: D3D700C0 0F03112C
	v_mfma_i32_16x16x32_i8 v[192:195], a[46:47], v[138:139], v[192:195]// 000000005350: D3D700C0 0F03152E
	buffer_load_dwordx4 a[124:127], v42, s[12:15], 0 offen     // 000000005358: E05C1000 80837C2A
	s_add_u32 s12, s78, s12                                    // 000000005360: 800C0C4E
	s_addc_u32 s13, 0, s13                                     // 000000005364: 820D0D80
	v_mfma_i32_16x16x32_i8 v[196:199], a[44:45], v[156:157], v[196:199]// 000000005368: D3D700C4 0F13392C
	v_mfma_i32_16x16x32_i8 v[196:199], a[46:47], v[158:159], v[196:199]// 000000005370: D3D700C4 0F133D2E
	s_waitcnt vmcnt(33)                                        // 000000005378: BF8C8F71
	v_mfma_i32_16x16x32_i8 v[168:171], a[48:49], v[140:141], v[168:171]// 00000000537C: D3D700A8 0EA31930
	v_mfma_i32_16x16x32_i8 v[168:171], a[50:51], v[142:143], v[168:171]// 000000005384: D3D700A8 0EA31D32
	buffer_load_dwordx4 a[128:131], v39, s[12:15], 0 offen     // 00000000538C: E05C1000 80838027
	v_mfma_i32_16x16x32_i8 v[172:175], a[48:49], v[160:161], v[172:175]// 000000005394: D3D700AC 0EB34130
	v_mfma_i32_16x16x32_i8 v[172:175], a[50:51], v[162:163], v[172:175]// 00000000539C: D3D700AC 0EB34532
	v_mfma_i32_16x16x32_i8 v[176:179], a[52:53], v[140:141], v[176:179]// 0000000053A4: D3D700B0 0EC31934
	v_mfma_i32_16x16x32_i8 v[176:179], a[54:55], v[142:143], v[176:179]// 0000000053AC: D3D700B0 0EC31D36
	buffer_load_dwordx4 a[132:135], v40, s[12:15], 0 offen     // 0000000053B4: E05C1000 80838428
	v_mfma_i32_16x16x32_i8 v[180:183], a[52:53], v[160:161], v[180:183]// 0000000053BC: D3D700B4 0ED34134
	v_mfma_i32_16x16x32_i8 v[180:183], a[54:55], v[162:163], v[180:183]// 0000000053C4: D3D700B4 0ED34536
	v_mfma_i32_16x16x32_i8 v[184:187], a[56:57], v[140:141], v[184:187]// 0000000053CC: D3D700B8 0EE31938
	v_mfma_i32_16x16x32_i8 v[184:187], a[58:59], v[142:143], v[184:187]// 0000000053D4: D3D700B8 0EE31D3A
	buffer_load_dwordx4 a[136:139], v41, s[12:15], 0 offen     // 0000000053DC: E05C1000 80838829
	v_mfma_i32_16x16x32_i8 v[188:191], a[56:57], v[160:161], v[188:191]// 0000000053E4: D3D700BC 0EF34138
	v_mfma_i32_16x16x32_i8 v[188:191], a[58:59], v[162:163], v[188:191]// 0000000053EC: D3D700BC 0EF3453A
	v_mfma_i32_16x16x32_i8 v[192:195], a[60:61], v[140:141], v[192:195]// 0000000053F4: D3D700C0 0F03193C
	v_mfma_i32_16x16x32_i8 v[192:195], a[62:63], v[142:143], v[192:195]// 0000000053FC: D3D700C0 0F031D3E
	buffer_load_dwordx4 a[140:143], v42, s[12:15], 0 offen     // 000000005404: E05C1000 80838C2A
	s_add_u32 s12, s78, s12                                    // 00000000540C: 800C0C4E
	s_addc_u32 s13, 0, s13                                     // 000000005410: 820D0D80
	v_mfma_i32_16x16x32_i8 v[196:199], a[60:61], v[160:161], v[196:199]// 000000005414: D3D700C4 0F13413C
	v_mfma_i32_16x16x32_i8 v[196:199], a[62:63], v[162:163], v[196:199]// 00000000541C: D3D700C4 0F13453E
	s_waitcnt vmcnt(32)                                        // 000000005424: BF8C8F70
	v_mfma_i32_16x16x32_i8 v[168:171], a[64:65], v[144:145], v[168:171]// 000000005428: D3D700A8 0EA32140
	v_mfma_i32_16x16x32_i8 v[168:171], a[66:67], v[146:147], v[168:171]// 000000005430: D3D700A8 0EA32542
	buffer_load_dwordx4 a[144:147], v39, s[12:15], 0 offen     // 000000005438: E05C1000 80839027
	v_mfma_i32_16x16x32_i8 v[172:175], a[64:65], v[164:165], v[172:175]// 000000005440: D3D700AC 0EB34940
	v_mfma_i32_16x16x32_i8 v[172:175], a[66:67], v[166:167], v[172:175]// 000000005448: D3D700AC 0EB34D42
	buffer_load_dword v13, v5, s[16:19], 0 offen               // 000000005450: E0501000 80040D05
	v_mfma_i32_16x16x32_i8 v[176:179], a[68:69], v[144:145], v[176:179]// 000000005458: D3D700B0 0EC32144
	v_mfma_i32_16x16x32_i8 v[176:179], a[70:71], v[146:147], v[176:179]// 000000005460: D3D700B0 0EC32546
	buffer_load_dwordx4 a[148:151], v40, s[12:15], 0 offen     // 000000005468: E05C1000 80839428
	v_mfma_i32_16x16x32_i8 v[180:183], a[68:69], v[164:165], v[180:183]// 000000005470: D3D700B4 0ED34944
	v_mfma_i32_16x16x32_i8 v[180:183], a[70:71], v[166:167], v[180:183]// 000000005478: D3D700B4 0ED34D46
	v_mfma_i32_16x16x32_i8 v[184:187], a[72:73], v[144:145], v[184:187]// 000000005480: D3D700B8 0EE32148
	v_mfma_i32_16x16x32_i8 v[184:187], a[74:75], v[146:147], v[184:187]// 000000005488: D3D700B8 0EE3254A
	buffer_load_dwordx4 a[152:155], v41, s[12:15], 0 offen     // 000000005490: E05C1000 80839829
	v_mfma_i32_16x16x32_i8 v[188:191], a[72:73], v[164:165], v[188:191]// 000000005498: D3D700BC 0EF34948
	v_mfma_i32_16x16x32_i8 v[188:191], a[74:75], v[166:167], v[188:191]// 0000000054A0: D3D700BC 0EF34D4A
	v_mfma_i32_16x16x32_i8 v[192:195], a[76:77], v[144:145], v[192:195]// 0000000054A8: D3D700C0 0F03214C
	v_mfma_i32_16x16x32_i8 v[192:195], a[78:79], v[146:147], v[192:195]// 0000000054B0: D3D700C0 0F03254E
	buffer_load_dwordx4 a[156:159], v42, s[12:15], 0 offen     // 0000000054B8: E05C1000 80839C2A
	v_mfma_i32_16x16x32_i8 v[196:199], a[76:77], v[164:165], v[196:199]// 0000000054C0: D3D700C4 0F13494C
	v_mfma_i32_16x16x32_i8 v[196:199], a[78:79], v[166:167], v[196:199]// 0000000054C8: D3D700C4 0F134D4E
	s_add_u32 s60, 0x200, s80                                  // 0000000054D0: 803C50FF 00000200
	s_cmp_lt_u32 s60, s81                                      // 0000000054D8: BF0A513C
	s_cselect_b32 s56, s56, 0                                  // 0000000054DC: 85388038
	s_cselect_b32 s78, s78, 0                                  // 0000000054E0: 854E804E
	s_cselect_b32 s79, s79, 0                                  // 0000000054E4: 854F804F
	s_add_u32 s12, s56, s12                                    // 0000000054E8: 800C0C38
	s_addc_u32 s13, 0, s13                                     // 0000000054EC: 820D0D80
	s_add_u32 s16, s79, s16                                    // 0000000054F0: 8010104F
	s_addc_u32 s17, 0, s17                                     // 0000000054F4: 82111180
	v_cvt_f32_i32_e32 v168, v168                               // 0000000054F8: 7F500BA8
	v_cvt_f32_i32_e32 v169, v169                               // 0000000054FC: 7F520BA9
	v_cvt_f32_i32_e32 v170, v170                               // 000000005500: 7F540BAA
	v_cvt_f32_i32_e32 v171, v171                               // 000000005504: 7F560BAB
	v_mul_f32_e32 v168, v24, v168                              // 000000005508: 0B515118
	v_mul_f32_e32 v169, v24, v169                              // 00000000550C: 0B535318
	v_mul_f32_e32 v170, v24, v170                              // 000000005510: 0B555518
	v_mul_f32_e32 v171, v24, v171                              // 000000005514: 0B575718
	v_mul_f32_dpp v168, v12, v168 row_newbcast:0 row_mask:0xf bank_mask:0xf// 000000005518: 0B5150FA FF01500C
	v_mul_f32_dpp v169, v12, v169 row_newbcast:1 row_mask:0xf bank_mask:0xf// 000000005520: 0B5352FA FF01510C
	v_mul_f32_dpp v170, v12, v170 row_newbcast:2 row_mask:0xf bank_mask:0xf// 000000005528: 0B5554FA FF01520C
	v_mul_f32_dpp v171, v12, v171 row_newbcast:3 row_mask:0xf bank_mask:0xf// 000000005530: 0B5756FA FF01530C
	v_mul_f32_e32 v168, v20, v168                              // 000000005538: 0B515114
	v_mul_f32_e32 v169, v20, v169                              // 00000000553C: 0B535314
	v_mul_f32_e32 v170, v20, v170                              // 000000005540: 0B555514
	v_mul_f32_e32 v171, v20, v171                              // 000000005544: 0B575714
	v_cvt_f32_i32_e32 v172, v172                               // 000000005548: 7F580BAC
	v_cvt_f32_i32_e32 v173, v173                               // 00000000554C: 7F5A0BAD
	v_cvt_f32_i32_e32 v174, v174                               // 000000005550: 7F5C0BAE
	v_cvt_f32_i32_e32 v175, v175                               // 000000005554: 7F5E0BAF
	v_mul_f32_e32 v172, v25, v172                              // 000000005558: 0B595919
	v_mul_f32_e32 v173, v25, v173                              // 00000000555C: 0B5B5B19
	v_mul_f32_e32 v174, v25, v174                              // 000000005560: 0B5D5D19
	v_mul_f32_e32 v175, v25, v175                              // 000000005564: 0B5F5F19
	v_mul_f32_dpp v172, v12, v172 row_newbcast:0 row_mask:0xf bank_mask:0xf// 000000005568: 0B5958FA FF01500C
	v_mul_f32_dpp v173, v12, v173 row_newbcast:1 row_mask:0xf bank_mask:0xf// 000000005570: 0B5B5AFA FF01510C
	v_mul_f32_dpp v174, v12, v174 row_newbcast:2 row_mask:0xf bank_mask:0xf// 000000005578: 0B5D5CFA FF01520C
	v_mul_f32_dpp v175, v12, v175 row_newbcast:3 row_mask:0xf bank_mask:0xf// 000000005580: 0B5F5EFA FF01530C
	v_mul_f32_e32 v172, v21, v172                              // 000000005588: 0B595915
	v_mul_f32_e32 v173, v21, v173                              // 00000000558C: 0B5B5B15
	v_mul_f32_e32 v174, v21, v174                              // 000000005590: 0B5D5D15
	v_mul_f32_e32 v175, v21, v175                              // 000000005594: 0B5F5F15
	v_cvt_f32_i32_e32 v176, v176                               // 000000005598: 7F600BB0
	v_cvt_f32_i32_e32 v177, v177                               // 00000000559C: 7F620BB1
	v_cvt_f32_i32_e32 v178, v178                               // 0000000055A0: 7F640BB2
	v_cvt_f32_i32_e32 v179, v179                               // 0000000055A4: 7F660BB3
	v_mul_f32_e32 v176, v24, v176                              // 0000000055A8: 0B616118
	v_mul_f32_e32 v177, v24, v177                              // 0000000055AC: 0B636318
	v_mul_f32_e32 v178, v24, v178                              // 0000000055B0: 0B656518
	v_mul_f32_e32 v179, v24, v179                              // 0000000055B4: 0B676718
	v_mul_f32_dpp v176, v12, v176 row_newbcast:4 row_mask:0xf bank_mask:0xf// 0000000055B8: 0B6160FA FF01540C
	v_mul_f32_dpp v177, v12, v177 row_newbcast:5 row_mask:0xf bank_mask:0xf// 0000000055C0: 0B6362FA FF01550C
	v_mul_f32_dpp v178, v12, v178 row_newbcast:6 row_mask:0xf bank_mask:0xf// 0000000055C8: 0B6564FA FF01560C
	v_mul_f32_dpp v179, v12, v179 row_newbcast:7 row_mask:0xf bank_mask:0xf// 0000000055D0: 0B6766FA FF01570C
	v_mul_f32_e32 v176, v20, v176                              // 0000000055D8: 0B616114
	v_mul_f32_e32 v177, v20, v177                              // 0000000055DC: 0B636314
	v_mul_f32_e32 v178, v20, v178                              // 0000000055E0: 0B656514
	v_mul_f32_e32 v179, v20, v179                              // 0000000055E4: 0B676714
	v_cvt_f32_i32_e32 v180, v180                               // 0000000055E8: 7F680BB4
	v_cvt_f32_i32_e32 v181, v181                               // 0000000055EC: 7F6A0BB5
	v_cvt_f32_i32_e32 v182, v182                               // 0000000055F0: 7F6C0BB6
	v_cvt_f32_i32_e32 v183, v183                               // 0000000055F4: 7F6E0BB7
	v_mul_f32_e32 v180, v25, v180                              // 0000000055F8: 0B696919
	v_mul_f32_e32 v181, v25, v181                              // 0000000055FC: 0B6B6B19
	v_mul_f32_e32 v182, v25, v182                              // 000000005600: 0B6D6D19
	v_mul_f32_e32 v183, v25, v183                              // 000000005604: 0B6F6F19
	v_mul_f32_dpp v180, v12, v180 row_newbcast:4 row_mask:0xf bank_mask:0xf// 000000005608: 0B6968FA FF01540C
	v_mul_f32_dpp v181, v12, v181 row_newbcast:5 row_mask:0xf bank_mask:0xf// 000000005610: 0B6B6AFA FF01550C
	v_mul_f32_dpp v182, v12, v182 row_newbcast:6 row_mask:0xf bank_mask:0xf// 000000005618: 0B6D6CFA FF01560C
	v_mul_f32_dpp v183, v12, v183 row_newbcast:7 row_mask:0xf bank_mask:0xf// 000000005620: 0B6F6EFA FF01570C
	v_mul_f32_e32 v180, v21, v180                              // 000000005628: 0B696915
	v_mul_f32_e32 v181, v21, v181                              // 00000000562C: 0B6B6B15
	v_mul_f32_e32 v182, v21, v182                              // 000000005630: 0B6D6D15
	v_mul_f32_e32 v183, v21, v183                              // 000000005634: 0B6F6F15
	v_cvt_f32_i32_e32 v184, v184                               // 000000005638: 7F700BB8
	v_cvt_f32_i32_e32 v185, v185                               // 00000000563C: 7F720BB9
	v_cvt_f32_i32_e32 v186, v186                               // 000000005640: 7F740BBA
	v_cvt_f32_i32_e32 v187, v187                               // 000000005644: 7F760BBB
	v_mul_f32_e32 v184, v24, v184                              // 000000005648: 0B717118
	v_mul_f32_e32 v185, v24, v185                              // 00000000564C: 0B737318
	v_mul_f32_e32 v186, v24, v186                              // 000000005650: 0B757518
	v_mul_f32_e32 v187, v24, v187                              // 000000005654: 0B777718
	v_mul_f32_dpp v184, v12, v184 row_newbcast:8 row_mask:0xf bank_mask:0xf// 000000005658: 0B7170FA FF01580C
	v_mul_f32_dpp v185, v12, v185 row_newbcast:9 row_mask:0xf bank_mask:0xf// 000000005660: 0B7372FA FF01590C
	v_mul_f32_dpp v186, v12, v186 row_newbcast:10 row_mask:0xf bank_mask:0xf// 000000005668: 0B7574FA FF015A0C
	v_mul_f32_dpp v187, v12, v187 row_newbcast:11 row_mask:0xf bank_mask:0xf// 000000005670: 0B7776FA FF015B0C
	v_mul_f32_e32 v184, v20, v184                              // 000000005678: 0B717114
	v_mul_f32_e32 v185, v20, v185                              // 00000000567C: 0B737314
	v_mul_f32_e32 v186, v20, v186                              // 000000005680: 0B757514
	v_mul_f32_e32 v187, v20, v187                              // 000000005684: 0B777714
	v_cvt_f32_i32_e32 v188, v188                               // 000000005688: 7F780BBC
	v_cvt_f32_i32_e32 v189, v189                               // 00000000568C: 7F7A0BBD
	v_cvt_f32_i32_e32 v190, v190                               // 000000005690: 7F7C0BBE
	v_cvt_f32_i32_e32 v191, v191                               // 000000005694: 7F7E0BBF
	v_mul_f32_e32 v188, v25, v188                              // 000000005698: 0B797919
	v_mul_f32_e32 v189, v25, v189                              // 00000000569C: 0B7B7B19
	v_mul_f32_e32 v190, v25, v190                              // 0000000056A0: 0B7D7D19
	v_mul_f32_e32 v191, v25, v191                              // 0000000056A4: 0B7F7F19
	v_mul_f32_dpp v188, v12, v188 row_newbcast:8 row_mask:0xf bank_mask:0xf// 0000000056A8: 0B7978FA FF01580C
	v_mul_f32_dpp v189, v12, v189 row_newbcast:9 row_mask:0xf bank_mask:0xf// 0000000056B0: 0B7B7AFA FF01590C
	v_mul_f32_dpp v190, v12, v190 row_newbcast:10 row_mask:0xf bank_mask:0xf// 0000000056B8: 0B7D7CFA FF015A0C
	v_mul_f32_dpp v191, v12, v191 row_newbcast:11 row_mask:0xf bank_mask:0xf// 0000000056C0: 0B7F7EFA FF015B0C
	v_mul_f32_e32 v188, v21, v188                              // 0000000056C8: 0B797915
	v_mul_f32_e32 v189, v21, v189                              // 0000000056CC: 0B7B7B15
	v_mul_f32_e32 v190, v21, v190                              // 0000000056D0: 0B7D7D15
	v_mul_f32_e32 v191, v21, v191                              // 0000000056D4: 0B7F7F15
	v_cvt_f32_i32_e32 v192, v192                               // 0000000056D8: 7F800BC0
	v_cvt_f32_i32_e32 v193, v193                               // 0000000056DC: 7F820BC1
	v_cvt_f32_i32_e32 v194, v194                               // 0000000056E0: 7F840BC2
	v_cvt_f32_i32_e32 v195, v195                               // 0000000056E4: 7F860BC3
	v_mul_f32_e32 v192, v24, v192                              // 0000000056E8: 0B818118
	v_mul_f32_e32 v193, v24, v193                              // 0000000056EC: 0B838318
	v_mul_f32_e32 v194, v24, v194                              // 0000000056F0: 0B858518
	v_mul_f32_e32 v195, v24, v195                              // 0000000056F4: 0B878718
	v_mul_f32_dpp v192, v12, v192 row_newbcast:12 row_mask:0xf bank_mask:0xf// 0000000056F8: 0B8180FA FF015C0C
	v_mul_f32_dpp v193, v12, v193 row_newbcast:13 row_mask:0xf bank_mask:0xf// 000000005700: 0B8382FA FF015D0C
	v_mul_f32_dpp v194, v12, v194 row_newbcast:14 row_mask:0xf bank_mask:0xf// 000000005708: 0B8584FA FF015E0C
	v_mul_f32_dpp v195, v12, v195 row_newbcast:15 row_mask:0xf bank_mask:0xf// 000000005710: 0B8786FA FF015F0C
	v_mul_f32_e32 v192, v20, v192                              // 000000005718: 0B818114
	v_mul_f32_e32 v193, v20, v193                              // 00000000571C: 0B838314
	v_mul_f32_e32 v194, v20, v194                              // 000000005720: 0B858514
	v_mul_f32_e32 v195, v20, v195                              // 000000005724: 0B878714
	v_cvt_f32_i32_e32 v196, v196                               // 000000005728: 7F880BC4
	v_cvt_f32_i32_e32 v197, v197                               // 00000000572C: 7F8A0BC5
	v_cvt_f32_i32_e32 v198, v198                               // 000000005730: 7F8C0BC6
	v_cvt_f32_i32_e32 v199, v199                               // 000000005734: 7F8E0BC7
	v_mul_f32_e32 v196, v25, v196                              // 000000005738: 0B898919
	v_mul_f32_e32 v197, v25, v197                              // 00000000573C: 0B8B8B19
	v_mul_f32_e32 v198, v25, v198                              // 000000005740: 0B8D8D19
	v_mul_f32_e32 v199, v25, v199                              // 000000005744: 0B8F8F19
	v_mul_f32_dpp v196, v12, v196 row_newbcast:12 row_mask:0xf bank_mask:0xf// 000000005748: 0B8988FA FF015C0C
	v_mul_f32_dpp v197, v12, v197 row_newbcast:13 row_mask:0xf bank_mask:0xf// 000000005750: 0B8B8AFA FF015D0C
	v_mul_f32_dpp v198, v12, v198 row_newbcast:14 row_mask:0xf bank_mask:0xf// 000000005758: 0B8D8CFA FF015E0C
	v_mul_f32_dpp v199, v12, v199 row_newbcast:15 row_mask:0xf bank_mask:0xf// 000000005760: 0B8F8EFA FF015F0C
	v_mul_f32_e32 v196, v21, v196                              // 000000005768: 0B898915
	v_mul_f32_e32 v197, v21, v197                              // 00000000576C: 0B8B8B15
	v_mul_f32_e32 v198, v21, v198                              // 000000005770: 0B8D8D15
	v_mul_f32_e32 v199, v21, v199                              // 000000005774: 0B8F8F15
	v_cmp_u_f32_e64 s[48:49], v168, v168                       // 000000005778: D0480030 000351A8
	v_add3_u32 v43, v168, v46, 1                               // 000000005780: D1FF002B 02065DA8
	v_cndmask_b32_e64 v48, v43, v45, s[48:49]                  // 000000005788: D1000030 00C25B2B
	v_cmp_u_f32_e64 s[48:49], v169, v169                       // 000000005790: D0480030 000353A9
	v_add3_u32 v43, v169, v46, 1                               // 000000005798: D1FF002B 02065DA9
	v_cndmask_b32_e64 v49, v43, v45, s[48:49]                  // 0000000057A0: D1000031 00C25B2B
	v_perm_b32 v168, v49, v48, s52                             // 0000000057A8: D1ED00A8 00D26131
	v_cmp_u_f32_e64 s[48:49], v170, v170                       // 0000000057B0: D0480030 000355AA
	v_add3_u32 v43, v170, v46, 1                               // 0000000057B8: D1FF002B 02065DAA
	v_cndmask_b32_e64 v48, v43, v45, s[48:49]                  // 0000000057C0: D1000030 00C25B2B
	v_cmp_u_f32_e64 s[48:49], v171, v171                       // 0000000057C8: D0480030 000357AB
	v_add3_u32 v43, v171, v46, 1                               // 0000000057D0: D1FF002B 02065DAB
	v_cndmask_b32_e64 v49, v43, v45, s[48:49]                  // 0000000057D8: D1000031 00C25B2B
	v_perm_b32 v169, v49, v48, s52                             // 0000000057E0: D1ED00A9 00D26131
	v_cmp_u_f32_e64 s[48:49], v172, v172                       // 0000000057E8: D0480030 000359AC
	v_add3_u32 v43, v172, v46, 1                               // 0000000057F0: D1FF002B 02065DAC
	v_cndmask_b32_e64 v48, v43, v45, s[48:49]                  // 0000000057F8: D1000030 00C25B2B
	v_cmp_u_f32_e64 s[48:49], v173, v173                       // 000000005800: D0480030 00035BAD
	v_add3_u32 v43, v173, v46, 1                               // 000000005808: D1FF002B 02065DAD
	v_cndmask_b32_e64 v49, v43, v45, s[48:49]                  // 000000005810: D1000031 00C25B2B
	v_perm_b32 v170, v49, v48, s52                             // 000000005818: D1ED00AA 00D26131
	v_cmp_u_f32_e64 s[48:49], v174, v174                       // 000000005820: D0480030 00035DAE
	v_add3_u32 v43, v174, v46, 1                               // 000000005828: D1FF002B 02065DAE
	v_cndmask_b32_e64 v48, v43, v45, s[48:49]                  // 000000005830: D1000030 00C25B2B
	v_cmp_u_f32_e64 s[48:49], v175, v175                       // 000000005838: D0480030 00035FAF
	v_add3_u32 v43, v175, v46, 1                               // 000000005840: D1FF002B 02065DAF
	v_cndmask_b32_e64 v49, v43, v45, s[48:49]                  // 000000005848: D1000031 00C25B2B
	v_perm_b32 v171, v49, v48, s52                             // 000000005850: D1ED00AB 00D26131
	v_cmp_u_f32_e64 s[48:49], v176, v176                       // 000000005858: D0480030 000361B0
	v_add3_u32 v43, v176, v46, 1                               // 000000005860: D1FF002B 02065DB0
	v_cndmask_b32_e64 v48, v43, v45, s[48:49]                  // 000000005868: D1000030 00C25B2B
	v_cmp_u_f32_e64 s[48:49], v177, v177                       // 000000005870: D0480030 000363B1
	v_add3_u32 v43, v177, v46, 1                               // 000000005878: D1FF002B 02065DB1
	v_cndmask_b32_e64 v49, v43, v45, s[48:49]                  // 000000005880: D1000031 00C25B2B
	v_perm_b32 v172, v49, v48, s52                             // 000000005888: D1ED00AC 00D26131
	v_cmp_u_f32_e64 s[48:49], v178, v178                       // 000000005890: D0480030 000365B2
	v_add3_u32 v43, v178, v46, 1                               // 000000005898: D1FF002B 02065DB2
	v_cndmask_b32_e64 v48, v43, v45, s[48:49]                  // 0000000058A0: D1000030 00C25B2B
	v_cmp_u_f32_e64 s[48:49], v179, v179                       // 0000000058A8: D0480030 000367B3
	v_add3_u32 v43, v179, v46, 1                               // 0000000058B0: D1FF002B 02065DB3
	v_cndmask_b32_e64 v49, v43, v45, s[48:49]                  // 0000000058B8: D1000031 00C25B2B
	v_perm_b32 v173, v49, v48, s52                             // 0000000058C0: D1ED00AD 00D26131
	v_cmp_u_f32_e64 s[48:49], v180, v180                       // 0000000058C8: D0480030 000369B4
	v_add3_u32 v43, v180, v46, 1                               // 0000000058D0: D1FF002B 02065DB4
	v_cndmask_b32_e64 v48, v43, v45, s[48:49]                  // 0000000058D8: D1000030 00C25B2B
	v_cmp_u_f32_e64 s[48:49], v181, v181                       // 0000000058E0: D0480030 00036BB5
	v_add3_u32 v43, v181, v46, 1                               // 0000000058E8: D1FF002B 02065DB5
	v_cndmask_b32_e64 v49, v43, v45, s[48:49]                  // 0000000058F0: D1000031 00C25B2B
	v_perm_b32 v174, v49, v48, s52                             // 0000000058F8: D1ED00AE 00D26131
	v_cmp_u_f32_e64 s[48:49], v182, v182                       // 000000005900: D0480030 00036DB6
	v_add3_u32 v43, v182, v46, 1                               // 000000005908: D1FF002B 02065DB6
	v_cndmask_b32_e64 v48, v43, v45, s[48:49]                  // 000000005910: D1000030 00C25B2B
	v_cmp_u_f32_e64 s[48:49], v183, v183                       // 000000005918: D0480030 00036FB7
	v_add3_u32 v43, v183, v46, 1                               // 000000005920: D1FF002B 02065DB7
	v_cndmask_b32_e64 v49, v43, v45, s[48:49]                  // 000000005928: D1000031 00C25B2B
	v_perm_b32 v175, v49, v48, s52                             // 000000005930: D1ED00AF 00D26131
	v_cmp_u_f32_e64 s[48:49], v184, v184                       // 000000005938: D0480030 000371B8
	v_add3_u32 v43, v184, v46, 1                               // 000000005940: D1FF002B 02065DB8
	v_cndmask_b32_e64 v48, v43, v45, s[48:49]                  // 000000005948: D1000030 00C25B2B
	v_cmp_u_f32_e64 s[48:49], v185, v185                       // 000000005950: D0480030 000373B9
	v_add3_u32 v43, v185, v46, 1                               // 000000005958: D1FF002B 02065DB9
	v_cndmask_b32_e64 v49, v43, v45, s[48:49]                  // 000000005960: D1000031 00C25B2B
	v_perm_b32 v176, v49, v48, s52                             // 000000005968: D1ED00B0 00D26131
	v_cmp_u_f32_e64 s[48:49], v186, v186                       // 000000005970: D0480030 000375BA
	v_add3_u32 v43, v186, v46, 1                               // 000000005978: D1FF002B 02065DBA
	v_cndmask_b32_e64 v48, v43, v45, s[48:49]                  // 000000005980: D1000030 00C25B2B
	v_cmp_u_f32_e64 s[48:49], v187, v187                       // 000000005988: D0480030 000377BB
	v_add3_u32 v43, v187, v46, 1                               // 000000005990: D1FF002B 02065DBB
	v_cndmask_b32_e64 v49, v43, v45, s[48:49]                  // 000000005998: D1000031 00C25B2B
	v_perm_b32 v177, v49, v48, s52                             // 0000000059A0: D1ED00B1 00D26131
	v_cmp_u_f32_e64 s[48:49], v188, v188                       // 0000000059A8: D0480030 000379BC
	v_add3_u32 v43, v188, v46, 1                               // 0000000059B0: D1FF002B 02065DBC
	v_cndmask_b32_e64 v48, v43, v45, s[48:49]                  // 0000000059B8: D1000030 00C25B2B
	v_cmp_u_f32_e64 s[48:49], v189, v189                       // 0000000059C0: D0480030 00037BBD
	v_add3_u32 v43, v189, v46, 1                               // 0000000059C8: D1FF002B 02065DBD
	v_cndmask_b32_e64 v49, v43, v45, s[48:49]                  // 0000000059D0: D1000031 00C25B2B
	v_perm_b32 v178, v49, v48, s52                             // 0000000059D8: D1ED00B2 00D26131
	v_cmp_u_f32_e64 s[48:49], v190, v190                       // 0000000059E0: D0480030 00037DBE
	v_add3_u32 v43, v190, v46, 1                               // 0000000059E8: D1FF002B 02065DBE
	v_cndmask_b32_e64 v48, v43, v45, s[48:49]                  // 0000000059F0: D1000030 00C25B2B
	v_cmp_u_f32_e64 s[48:49], v191, v191                       // 0000000059F8: D0480030 00037FBF
	v_add3_u32 v43, v191, v46, 1                               // 000000005A00: D1FF002B 02065DBF
	v_cndmask_b32_e64 v49, v43, v45, s[48:49]                  // 000000005A08: D1000031 00C25B2B
	v_perm_b32 v179, v49, v48, s52                             // 000000005A10: D1ED00B3 00D26131
	v_cmp_u_f32_e64 s[48:49], v192, v192                       // 000000005A18: D0480030 000381C0
	v_add3_u32 v43, v192, v46, 1                               // 000000005A20: D1FF002B 02065DC0
	v_cndmask_b32_e64 v48, v43, v45, s[48:49]                  // 000000005A28: D1000030 00C25B2B
	v_cmp_u_f32_e64 s[48:49], v193, v193                       // 000000005A30: D0480030 000383C1
	v_add3_u32 v43, v193, v46, 1                               // 000000005A38: D1FF002B 02065DC1
	v_cndmask_b32_e64 v49, v43, v45, s[48:49]                  // 000000005A40: D1000031 00C25B2B
	v_perm_b32 v180, v49, v48, s52                             // 000000005A48: D1ED00B4 00D26131
	v_cmp_u_f32_e64 s[48:49], v194, v194                       // 000000005A50: D0480030 000385C2
	v_add3_u32 v43, v194, v46, 1                               // 000000005A58: D1FF002B 02065DC2
	v_cndmask_b32_e64 v48, v43, v45, s[48:49]                  // 000000005A60: D1000030 00C25B2B
	v_cmp_u_f32_e64 s[48:49], v195, v195                       // 000000005A68: D0480030 000387C3
	v_add3_u32 v43, v195, v46, 1                               // 000000005A70: D1FF002B 02065DC3
	v_cndmask_b32_e64 v49, v43, v45, s[48:49]                  // 000000005A78: D1000031 00C25B2B
	v_perm_b32 v181, v49, v48, s52                             // 000000005A80: D1ED00B5 00D26131
	v_cmp_u_f32_e64 s[48:49], v196, v196                       // 000000005A88: D0480030 000389C4
	v_add3_u32 v43, v196, v46, 1                               // 000000005A90: D1FF002B 02065DC4
	v_cndmask_b32_e64 v48, v43, v45, s[48:49]                  // 000000005A98: D1000030 00C25B2B
	v_cmp_u_f32_e64 s[48:49], v197, v197                       // 000000005AA0: D0480030 00038BC5
	v_add3_u32 v43, v197, v46, 1                               // 000000005AA8: D1FF002B 02065DC5
	v_cndmask_b32_e64 v49, v43, v45, s[48:49]                  // 000000005AB0: D1000031 00C25B2B
	v_perm_b32 v182, v49, v48, s52                             // 000000005AB8: D1ED00B6 00D26131
	v_cmp_u_f32_e64 s[48:49], v198, v198                       // 000000005AC0: D0480030 00038DC6
	v_add3_u32 v43, v198, v46, 1                               // 000000005AC8: D1FF002B 02065DC6
	v_cndmask_b32_e64 v48, v43, v45, s[48:49]                  // 000000005AD0: D1000030 00C25B2B
	v_cmp_u_f32_e64 s[48:49], v199, v199                       // 000000005AD8: D0480030 00038FC7
	v_add3_u32 v43, v199, v46, 1                               // 000000005AE0: D1FF002B 02065DC7
	v_cndmask_b32_e64 v49, v43, v45, s[48:49]                  // 000000005AE8: D1000031 00C25B2B
	v_perm_b32 v183, v49, v48, s52                             // 000000005AF0: D1ED00B7 00D26131
	ds_write_b64 v3, v[168:169] offset:28928                   // 000000005AF8: D89A7100 0000A803
	ds_write_b64 v3, v[170:171] offset:37632                   // 000000005B00: D89A9300 0000AA03
	ds_write_b64 v3, v[172:173] offset:31104                   // 000000005B08: D89A7980 0000AC03
	ds_write_b64 v3, v[174:175] offset:39808                   // 000000005B10: D89A9B80 0000AE03
	ds_write_b64 v3, v[176:177] offset:33280                   // 000000005B18: D89A8200 0000B003
	ds_write_b64 v3, v[178:179] offset:41984                   // 000000005B20: D89AA400 0000B203
	ds_write_b64 v3, v[180:181] offset:35456                   // 000000005B28: D89A8A80 0000B403
	ds_write_b64 v3, v[182:183] offset:44160                   // 000000005B30: D89AAC80 0000B603
	s_waitcnt lgkmcnt(0)                                       // 000000005B38: BF8CC07F
	s_barrier                                                  // 000000005B3C: BF8A0000
	ds_read_b32 v64, v4 offset:28928                           // 000000005B40: D86C7100 40000004
	ds_read_b32 v65, v4 offset:33280                           // 000000005B48: D86C8200 41000004
	ds_read_b32 v66, v4 offset:28960                           // 000000005B50: D86C7120 42000004
	ds_read_b32 v67, v4 offset:33312                           // 000000005B58: D86C8220 43000004
	ds_read_b32 v68, v4 offset:28992                           // 000000005B60: D86C7140 44000004
	ds_read_b32 v69, v4 offset:33344                           // 000000005B68: D86C8240 45000004
	ds_read_b32 v70, v4 offset:29024                           // 000000005B70: D86C7160 46000004
	ds_read_b32 v71, v4 offset:33376                           // 000000005B78: D86C8260 47000004
	ds_read_b32 v72, v4 offset:37632                           // 000000005B80: D86C9300 48000004
	ds_read_b32 v73, v4 offset:41984                           // 000000005B88: D86CA400 49000004
	ds_read_b32 v74, v4 offset:37664                           // 000000005B90: D86C9320 4A000004
	ds_read_b32 v75, v4 offset:42016                           // 000000005B98: D86CA420 4B000004
	ds_read_b32 v76, v4 offset:37696                           // 000000005BA0: D86C9340 4C000004
	ds_read_b32 v77, v4 offset:42048                           // 000000005BA8: D86CA440 4D000004
	ds_read_b32 v78, v4 offset:37728                           // 000000005BB0: D86C9360 4E000004
	ds_read_b32 v79, v4 offset:42080                           // 000000005BB8: D86CA460 4F000004
	s_waitcnt lgkmcnt(0)                                       // 000000005BC0: BF8CC07F
	s_mov_b64 exec, s[20:21]                                   // 000000005BC4: BEFE0114
	global_atomic_pk_add_bf16 v80, v64, s[8:9]                 // 000000005BC8: DD488000 00084050
	s_mov_b64 exec, s[36:37]                                   // 000000005BD0: BEFE0124
	s_mov_b64 exec, s[20:21]                                   // 000000005BD4: BEFE0114
	global_atomic_pk_add_bf16 v80, v65, s[8:9] offset:256      // 000000005BD8: DD488100 00084150
	s_mov_b64 exec, s[36:37]                                   // 000000005BE0: BEFE0124
	s_mov_b64 exec, s[22:23]                                   // 000000005BE4: BEFE0116
	global_atomic_pk_add_bf16 v82, v66, s[8:9]                 // 000000005BE8: DD488000 00084252
	s_mov_b64 exec, s[36:37]                                   // 000000005BF0: BEFE0124
	s_mov_b64 exec, s[22:23]                                   // 000000005BF4: BEFE0116
	global_atomic_pk_add_bf16 v82, v67, s[8:9] offset:256      // 000000005BF8: DD488100 00084352
	s_mov_b64 exec, s[36:37]                                   // 000000005C00: BEFE0124
	s_mov_b64 exec, s[24:25]                                   // 000000005C04: BEFE0118
	global_atomic_pk_add_bf16 v84, v68, s[8:9]                 // 000000005C08: DD488000 00084454
	s_mov_b64 exec, s[36:37]                                   // 000000005C10: BEFE0124
	s_mov_b64 exec, s[24:25]                                   // 000000005C14: BEFE0118
	global_atomic_pk_add_bf16 v84, v69, s[8:9] offset:256      // 000000005C18: DD488100 00084554
	s_mov_b64 exec, s[36:37]                                   // 000000005C20: BEFE0124
	s_mov_b64 exec, s[26:27]                                   // 000000005C24: BEFE011A
	global_atomic_pk_add_bf16 v86, v70, s[8:9]                 // 000000005C28: DD488000 00084656
	s_mov_b64 exec, s[36:37]                                   // 000000005C30: BEFE0124
	s_mov_b64 exec, s[26:27]                                   // 000000005C34: BEFE011A
	global_atomic_pk_add_bf16 v86, v71, s[8:9] offset:256      // 000000005C38: DD488100 00084756
	s_mov_b64 exec, s[36:37]                                   // 000000005C40: BEFE0124
	s_mov_b64 exec, s[28:29]                                   // 000000005C44: BEFE011C
	global_atomic_pk_add_bf16 v88, v72, s[8:9]                 // 000000005C48: DD488000 00084858
	s_mov_b64 exec, s[36:37]                                   // 000000005C50: BEFE0124
	s_mov_b64 exec, s[28:29]                                   // 000000005C54: BEFE011C
	global_atomic_pk_add_bf16 v88, v73, s[8:9] offset:256      // 000000005C58: DD488100 00084958
	s_mov_b64 exec, s[36:37]                                   // 000000005C60: BEFE0124
	s_mov_b64 exec, s[30:31]                                   // 000000005C64: BEFE011E
	global_atomic_pk_add_bf16 v90, v74, s[8:9]                 // 000000005C68: DD488000 00084A5A
	s_mov_b64 exec, s[36:37]                                   // 000000005C70: BEFE0124
	s_mov_b64 exec, s[30:31]                                   // 000000005C74: BEFE011E
	global_atomic_pk_add_bf16 v90, v75, s[8:9] offset:256      // 000000005C78: DD488100 00084B5A
	s_mov_b64 exec, s[36:37]                                   // 000000005C80: BEFE0124
	s_mov_b64 exec, s[32:33]                                   // 000000005C84: BEFE0120
	global_atomic_pk_add_bf16 v92, v76, s[8:9]                 // 000000005C88: DD488000 00084C5C
	s_mov_b64 exec, s[36:37]                                   // 000000005C90: BEFE0124
	s_mov_b64 exec, s[32:33]                                   // 000000005C94: BEFE0120
	global_atomic_pk_add_bf16 v92, v77, s[8:9] offset:256      // 000000005C98: DD488100 00084D5C
	s_mov_b64 exec, s[36:37]                                   // 000000005CA0: BEFE0124
	s_mov_b64 exec, s[34:35]                                   // 000000005CA4: BEFE0122
	global_atomic_pk_add_bf16 v94, v78, s[8:9]                 // 000000005CA8: DD488000 00084E5E
	s_mov_b64 exec, s[36:37]                                   // 000000005CB0: BEFE0124
	s_mov_b64 exec, s[34:35]                                   // 000000005CB4: BEFE0122
	global_atomic_pk_add_bf16 v94, v79, s[8:9] offset:256      // 000000005CB8: DD488100 00084F5E
	s_mov_b64 exec, s[36:37]                                   // 000000005CC0: BEFE0124
	s_add_u32 s8, s59, s8                                      // 000000005CC4: 8008083B
	s_addc_u32 s9, 0, s9                                       // 000000005CC8: 82090980
	s_addk_i32 s80, 0x100                                      // 000000005CCC: B7500100
	s_cmp_lt_i32 s80, s81                                      // 000000005CD0: BF045150
	s_cbranch_scc0 label_0E91                                  // 000000005CD4: BF8402DB
	s_waitcnt vmcnt(33)                                        // 000000005CD8: BF8C8F71
	s_barrier                                                  // 000000005CDC: BF8A0000
	v_mfma_i32_16x16x32_i8 v[200:203], a[80:81], v[128:129], 0 // 000000005CE0: D3D700C8 0A030150
	v_mfma_i32_16x16x32_i8 v[200:203], a[82:83], v[130:131], v[200:203]// 000000005CE8: D3D700C8 0F230552
	buffer_load_dwordx4 a[0:3], v39, s[12:15], 0 offen         // 000000005CF0: E05C1000 80830027
	v_mfma_i32_16x16x32_i8 v[204:207], a[80:81], v[148:149], 0 // 000000005CF8: D3D700CC 0A032950
	v_mfma_i32_16x16x32_i8 v[204:207], a[82:83], v[150:151], v[204:207]// 000000005D00: D3D700CC 0F332D52
	v_mfma_i32_16x16x32_i8 v[208:211], a[84:85], v[128:129], 0 // 000000005D08: D3D700D0 0A030154
	v_mfma_i32_16x16x32_i8 v[208:211], a[86:87], v[130:131], v[208:211]// 000000005D10: D3D700D0 0F430556
	buffer_load_dwordx4 a[4:7], v40, s[12:15], 0 offen         // 000000005D18: E05C1000 80830428
	v_mfma_i32_16x16x32_i8 v[212:215], a[84:85], v[148:149], 0 // 000000005D20: D3D700D4 0A032954
	v_mfma_i32_16x16x32_i8 v[212:215], a[86:87], v[150:151], v[212:215]// 000000005D28: D3D700D4 0F532D56
	v_mfma_i32_16x16x32_i8 v[216:219], a[88:89], v[128:129], 0 // 000000005D30: D3D700D8 0A030158
	v_mfma_i32_16x16x32_i8 v[216:219], a[90:91], v[130:131], v[216:219]// 000000005D38: D3D700D8 0F63055A
	buffer_load_dwordx4 a[8:11], v41, s[12:15], 0 offen        // 000000005D40: E05C1000 80830829
	v_mfma_i32_16x16x32_i8 v[220:223], a[88:89], v[148:149], 0 // 000000005D48: D3D700DC 0A032958
	v_mfma_i32_16x16x32_i8 v[220:223], a[90:91], v[150:151], v[220:223]// 000000005D50: D3D700DC 0F732D5A
	v_mfma_i32_16x16x32_i8 v[224:227], a[92:93], v[128:129], 0 // 000000005D58: D3D700E0 0A03015C
	v_mfma_i32_16x16x32_i8 v[224:227], a[94:95], v[130:131], v[224:227]// 000000005D60: D3D700E0 0F83055E
	buffer_load_dwordx4 a[12:15], v42, s[12:15], 0 offen       // 000000005D68: E05C1000 80830C2A
	s_add_u32 s12, s78, s12                                    // 000000005D70: 800C0C4E
	s_addc_u32 s13, 0, s13                                     // 000000005D74: 820D0D80
	v_mfma_i32_16x16x32_i8 v[228:231], a[92:93], v[148:149], 0 // 000000005D78: D3D700E4 0A03295C
	v_mfma_i32_16x16x32_i8 v[228:231], a[94:95], v[150:151], v[228:231]// 000000005D80: D3D700E4 0F932D5E
	s_waitcnt vmcnt(33)                                        // 000000005D88: BF8C8F71
	v_mfma_i32_16x16x32_i8 v[200:203], a[96:97], v[132:133], v[200:203]// 000000005D8C: D3D700C8 0F230960
	v_mfma_i32_16x16x32_i8 v[200:203], a[98:99], v[134:135], v[200:203]// 000000005D94: D3D700C8 0F230D62
	buffer_load_dwordx4 a[16:19], v39, s[12:15], 0 offen       // 000000005D9C: E05C1000 80831027
	v_mfma_i32_16x16x32_i8 v[204:207], a[96:97], v[152:153], v[204:207]// 000000005DA4: D3D700CC 0F333160
	v_mfma_i32_16x16x32_i8 v[204:207], a[98:99], v[154:155], v[204:207]// 000000005DAC: D3D700CC 0F333562
	v_mfma_i32_16x16x32_i8 v[208:211], a[100:101], v[132:133], v[208:211]// 000000005DB4: D3D700D0 0F430964
	v_mfma_i32_16x16x32_i8 v[208:211], a[102:103], v[134:135], v[208:211]// 000000005DBC: D3D700D0 0F430D66
	buffer_load_dwordx4 a[20:23], v40, s[12:15], 0 offen       // 000000005DC4: E05C1000 80831428
	v_mfma_i32_16x16x32_i8 v[212:215], a[100:101], v[152:153], v[212:215]// 000000005DCC: D3D700D4 0F533164
	v_mfma_i32_16x16x32_i8 v[212:215], a[102:103], v[154:155], v[212:215]// 000000005DD4: D3D700D4 0F533566
	v_mfma_i32_16x16x32_i8 v[216:219], a[104:105], v[132:133], v[216:219]// 000000005DDC: D3D700D8 0F630968
	v_mfma_i32_16x16x32_i8 v[216:219], a[106:107], v[134:135], v[216:219]// 000000005DE4: D3D700D8 0F630D6A
	buffer_load_dwordx4 a[24:27], v41, s[12:15], 0 offen       // 000000005DEC: E05C1000 80831829
	v_mfma_i32_16x16x32_i8 v[220:223], a[104:105], v[152:153], v[220:223]// 000000005DF4: D3D700DC 0F733168
	v_mfma_i32_16x16x32_i8 v[220:223], a[106:107], v[154:155], v[220:223]// 000000005DFC: D3D700DC 0F73356A
	v_mfma_i32_16x16x32_i8 v[224:227], a[108:109], v[132:133], v[224:227]// 000000005E04: D3D700E0 0F83096C
	v_mfma_i32_16x16x32_i8 v[224:227], a[110:111], v[134:135], v[224:227]// 000000005E0C: D3D700E0 0F830D6E
	buffer_load_dwordx4 a[28:31], v42, s[12:15], 0 offen       // 000000005E14: E05C1000 80831C2A
	s_add_u32 s12, s78, s12                                    // 000000005E1C: 800C0C4E
	s_addc_u32 s13, 0, s13                                     // 000000005E20: 820D0D80
	v_mfma_i32_16x16x32_i8 v[228:231], a[108:109], v[152:153], v[228:231]// 000000005E24: D3D700E4 0F93316C
	v_mfma_i32_16x16x32_i8 v[228:231], a[110:111], v[154:155], v[228:231]// 000000005E2C: D3D700E4 0F93356E
	s_waitcnt vmcnt(33)                                        // 000000005E34: BF8C8F71
	v_mfma_i32_16x16x32_i8 v[200:203], a[112:113], v[136:137], v[200:203]// 000000005E38: D3D700C8 0F231170
	v_mfma_i32_16x16x32_i8 v[200:203], a[114:115], v[138:139], v[200:203]// 000000005E40: D3D700C8 0F231572
	buffer_load_dwordx4 a[32:35], v39, s[12:15], 0 offen       // 000000005E48: E05C1000 80832027
	v_mfma_i32_16x16x32_i8 v[204:207], a[112:113], v[156:157], v[204:207]// 000000005E50: D3D700CC 0F333970
	v_mfma_i32_16x16x32_i8 v[204:207], a[114:115], v[158:159], v[204:207]// 000000005E58: D3D700CC 0F333D72
	v_mfma_i32_16x16x32_i8 v[208:211], a[116:117], v[136:137], v[208:211]// 000000005E60: D3D700D0 0F431174
	v_mfma_i32_16x16x32_i8 v[208:211], a[118:119], v[138:139], v[208:211]// 000000005E68: D3D700D0 0F431576
	buffer_load_dwordx4 a[36:39], v40, s[12:15], 0 offen       // 000000005E70: E05C1000 80832428
	v_mfma_i32_16x16x32_i8 v[212:215], a[116:117], v[156:157], v[212:215]// 000000005E78: D3D700D4 0F533974
	v_mfma_i32_16x16x32_i8 v[212:215], a[118:119], v[158:159], v[212:215]// 000000005E80: D3D700D4 0F533D76
	v_mfma_i32_16x16x32_i8 v[216:219], a[120:121], v[136:137], v[216:219]// 000000005E88: D3D700D8 0F631178
	v_mfma_i32_16x16x32_i8 v[216:219], a[122:123], v[138:139], v[216:219]// 000000005E90: D3D700D8 0F63157A
	buffer_load_dwordx4 a[40:43], v41, s[12:15], 0 offen       // 000000005E98: E05C1000 80832829
	v_mfma_i32_16x16x32_i8 v[220:223], a[120:121], v[156:157], v[220:223]// 000000005EA0: D3D700DC 0F733978
	v_mfma_i32_16x16x32_i8 v[220:223], a[122:123], v[158:159], v[220:223]// 000000005EA8: D3D700DC 0F733D7A
	v_mfma_i32_16x16x32_i8 v[224:227], a[124:125], v[136:137], v[224:227]// 000000005EB0: D3D700E0 0F83117C
	v_mfma_i32_16x16x32_i8 v[224:227], a[126:127], v[138:139], v[224:227]// 000000005EB8: D3D700E0 0F83157E
	buffer_load_dwordx4 a[44:47], v42, s[12:15], 0 offen       // 000000005EC0: E05C1000 80832C2A
	s_add_u32 s12, s78, s12                                    // 000000005EC8: 800C0C4E
	s_addc_u32 s13, 0, s13                                     // 000000005ECC: 820D0D80
	v_mfma_i32_16x16x32_i8 v[228:231], a[124:125], v[156:157], v[228:231]// 000000005ED0: D3D700E4 0F93397C
	v_mfma_i32_16x16x32_i8 v[228:231], a[126:127], v[158:159], v[228:231]// 000000005ED8: D3D700E4 0F933D7E
	s_waitcnt vmcnt(33)                                        // 000000005EE0: BF8C8F71
	v_mfma_i32_16x16x32_i8 v[200:203], a[128:129], v[140:141], v[200:203]// 000000005EE4: D3D700C8 0F231980
	v_mfma_i32_16x16x32_i8 v[200:203], a[130:131], v[142:143], v[200:203]// 000000005EEC: D3D700C8 0F231D82
	buffer_load_dwordx4 a[48:51], v39, s[12:15], 0 offen       // 000000005EF4: E05C1000 80833027
	v_mfma_i32_16x16x32_i8 v[204:207], a[128:129], v[160:161], v[204:207]// 000000005EFC: D3D700CC 0F334180
	v_mfma_i32_16x16x32_i8 v[204:207], a[130:131], v[162:163], v[204:207]// 000000005F04: D3D700CC 0F334582
	v_mfma_i32_16x16x32_i8 v[208:211], a[132:133], v[140:141], v[208:211]// 000000005F0C: D3D700D0 0F431984
	v_mfma_i32_16x16x32_i8 v[208:211], a[134:135], v[142:143], v[208:211]// 000000005F14: D3D700D0 0F431D86
	buffer_load_dwordx4 a[52:55], v40, s[12:15], 0 offen       // 000000005F1C: E05C1000 80833428
	v_mfma_i32_16x16x32_i8 v[212:215], a[132:133], v[160:161], v[212:215]// 000000005F24: D3D700D4 0F534184
	v_mfma_i32_16x16x32_i8 v[212:215], a[134:135], v[162:163], v[212:215]// 000000005F2C: D3D700D4 0F534586
	v_mfma_i32_16x16x32_i8 v[216:219], a[136:137], v[140:141], v[216:219]// 000000005F34: D3D700D8 0F631988
	v_mfma_i32_16x16x32_i8 v[216:219], a[138:139], v[142:143], v[216:219]// 000000005F3C: D3D700D8 0F631D8A
	buffer_load_dwordx4 a[56:59], v41, s[12:15], 0 offen       // 000000005F44: E05C1000 80833829
	v_mfma_i32_16x16x32_i8 v[220:223], a[136:137], v[160:161], v[220:223]// 000000005F4C: D3D700DC 0F734188
	v_mfma_i32_16x16x32_i8 v[220:223], a[138:139], v[162:163], v[220:223]// 000000005F54: D3D700DC 0F73458A
	v_mfma_i32_16x16x32_i8 v[224:227], a[140:141], v[140:141], v[224:227]// 000000005F5C: D3D700E0 0F83198C
	v_mfma_i32_16x16x32_i8 v[224:227], a[142:143], v[142:143], v[224:227]// 000000005F64: D3D700E0 0F831D8E
	buffer_load_dwordx4 a[60:63], v42, s[12:15], 0 offen       // 000000005F6C: E05C1000 80833C2A
	s_add_u32 s12, s78, s12                                    // 000000005F74: 800C0C4E
	s_addc_u32 s13, 0, s13                                     // 000000005F78: 820D0D80
	v_mfma_i32_16x16x32_i8 v[228:231], a[140:141], v[160:161], v[228:231]// 000000005F7C: D3D700E4 0F93418C
	v_mfma_i32_16x16x32_i8 v[228:231], a[142:143], v[162:163], v[228:231]// 000000005F84: D3D700E4 0F93458E
	s_waitcnt vmcnt(32)                                        // 000000005F8C: BF8C8F70
	v_mfma_i32_16x16x32_i8 v[200:203], a[144:145], v[144:145], v[200:203]// 000000005F90: D3D700C8 0F232190
	v_mfma_i32_16x16x32_i8 v[200:203], a[146:147], v[146:147], v[200:203]// 000000005F98: D3D700C8 0F232592
	buffer_load_dwordx4 a[64:67], v39, s[12:15], 0 offen       // 000000005FA0: E05C1000 80834027
	v_mfma_i32_16x16x32_i8 v[204:207], a[144:145], v[164:165], v[204:207]// 000000005FA8: D3D700CC 0F334990
	v_mfma_i32_16x16x32_i8 v[204:207], a[146:147], v[166:167], v[204:207]// 000000005FB0: D3D700CC 0F334D92
	buffer_load_dword v12, v5, s[16:19], 0 offen               // 000000005FB8: E0501000 80040C05
	v_mfma_i32_16x16x32_i8 v[208:211], a[148:149], v[144:145], v[208:211]// 000000005FC0: D3D700D0 0F432194
	v_mfma_i32_16x16x32_i8 v[208:211], a[150:151], v[146:147], v[208:211]// 000000005FC8: D3D700D0 0F432596
	buffer_load_dwordx4 a[68:71], v40, s[12:15], 0 offen       // 000000005FD0: E05C1000 80834428
	v_mfma_i32_16x16x32_i8 v[212:215], a[148:149], v[164:165], v[212:215]// 000000005FD8: D3D700D4 0F534994
	v_mfma_i32_16x16x32_i8 v[212:215], a[150:151], v[166:167], v[212:215]// 000000005FE0: D3D700D4 0F534D96
	v_mfma_i32_16x16x32_i8 v[216:219], a[152:153], v[144:145], v[216:219]// 000000005FE8: D3D700D8 0F632198
	v_mfma_i32_16x16x32_i8 v[216:219], a[154:155], v[146:147], v[216:219]// 000000005FF0: D3D700D8 0F63259A
	buffer_load_dwordx4 a[72:75], v41, s[12:15], 0 offen       // 000000005FF8: E05C1000 80834829
	v_mfma_i32_16x16x32_i8 v[220:223], a[152:153], v[164:165], v[220:223]// 000000006000: D3D700DC 0F734998
	v_mfma_i32_16x16x32_i8 v[220:223], a[154:155], v[166:167], v[220:223]// 000000006008: D3D700DC 0F734D9A
	v_mfma_i32_16x16x32_i8 v[224:227], a[156:157], v[144:145], v[224:227]// 000000006010: D3D700E0 0F83219C
	v_mfma_i32_16x16x32_i8 v[224:227], a[158:159], v[146:147], v[224:227]// 000000006018: D3D700E0 0F83259E
	buffer_load_dwordx4 a[76:79], v42, s[12:15], 0 offen       // 000000006020: E05C1000 80834C2A
	v_mfma_i32_16x16x32_i8 v[228:231], a[156:157], v[164:165], v[228:231]// 000000006028: D3D700E4 0F93499C
	v_mfma_i32_16x16x32_i8 v[228:231], a[158:159], v[166:167], v[228:231]// 000000006030: D3D700E4 0F934D9E
	s_add_u32 s60, 0x200, s80                                  // 000000006038: 803C50FF 00000200
	s_cmp_lt_u32 s60, s81                                      // 000000006040: BF0A513C
	s_cselect_b32 s56, s56, 0                                  // 000000006044: 85388038
	s_cselect_b32 s78, s78, 0                                  // 000000006048: 854E804E
	s_cselect_b32 s79, s79, 0                                  // 00000000604C: 854F804F
	s_add_u32 s12, s56, s12                                    // 000000006050: 800C0C38
	s_addc_u32 s13, 0, s13                                     // 000000006054: 820D0D80
	s_add_u32 s16, s79, s16                                    // 000000006058: 8010104F
	s_addc_u32 s17, 0, s17                                     // 00000000605C: 82111180
	v_cvt_f32_i32_e32 v200, v200                               // 000000006060: 7F900BC8
	v_cvt_f32_i32_e32 v201, v201                               // 000000006064: 7F920BC9
	v_cvt_f32_i32_e32 v202, v202                               // 000000006068: 7F940BCA
	v_cvt_f32_i32_e32 v203, v203                               // 00000000606C: 7F960BCB
	v_mul_f32_e32 v200, v24, v200                              // 000000006070: 0B919118
	v_mul_f32_e32 v201, v24, v201                              // 000000006074: 0B939318
	v_mul_f32_e32 v202, v24, v202                              // 000000006078: 0B959518
	v_mul_f32_e32 v203, v24, v203                              // 00000000607C: 0B979718
	v_mul_f32_dpp v200, v13, v200 row_newbcast:0 row_mask:0xf bank_mask:0xf// 000000006080: 0B9190FA FF01500D
	v_mul_f32_dpp v201, v13, v201 row_newbcast:1 row_mask:0xf bank_mask:0xf// 000000006088: 0B9392FA FF01510D
	v_mul_f32_dpp v202, v13, v202 row_newbcast:2 row_mask:0xf bank_mask:0xf// 000000006090: 0B9594FA FF01520D
	v_mul_f32_dpp v203, v13, v203 row_newbcast:3 row_mask:0xf bank_mask:0xf// 000000006098: 0B9796FA FF01530D
	v_mul_f32_e32 v200, v20, v200                              // 0000000060A0: 0B919114
	v_mul_f32_e32 v201, v20, v201                              // 0000000060A4: 0B939314
	v_mul_f32_e32 v202, v20, v202                              // 0000000060A8: 0B959514
	v_mul_f32_e32 v203, v20, v203                              // 0000000060AC: 0B979714
	v_cvt_f32_i32_e32 v204, v204                               // 0000000060B0: 7F980BCC
	v_cvt_f32_i32_e32 v205, v205                               // 0000000060B4: 7F9A0BCD
	v_cvt_f32_i32_e32 v206, v206                               // 0000000060B8: 7F9C0BCE
	v_cvt_f32_i32_e32 v207, v207                               // 0000000060BC: 7F9E0BCF
	v_mul_f32_e32 v204, v25, v204                              // 0000000060C0: 0B999919
	v_mul_f32_e32 v205, v25, v205                              // 0000000060C4: 0B9B9B19
	v_mul_f32_e32 v206, v25, v206                              // 0000000060C8: 0B9D9D19
	v_mul_f32_e32 v207, v25, v207                              // 0000000060CC: 0B9F9F19
	v_mul_f32_dpp v204, v13, v204 row_newbcast:0 row_mask:0xf bank_mask:0xf// 0000000060D0: 0B9998FA FF01500D
	v_mul_f32_dpp v205, v13, v205 row_newbcast:1 row_mask:0xf bank_mask:0xf// 0000000060D8: 0B9B9AFA FF01510D
	v_mul_f32_dpp v206, v13, v206 row_newbcast:2 row_mask:0xf bank_mask:0xf// 0000000060E0: 0B9D9CFA FF01520D
	v_mul_f32_dpp v207, v13, v207 row_newbcast:3 row_mask:0xf bank_mask:0xf// 0000000060E8: 0B9F9EFA FF01530D
	v_mul_f32_e32 v204, v21, v204                              // 0000000060F0: 0B999915
	v_mul_f32_e32 v205, v21, v205                              // 0000000060F4: 0B9B9B15
	v_mul_f32_e32 v206, v21, v206                              // 0000000060F8: 0B9D9D15
	v_mul_f32_e32 v207, v21, v207                              // 0000000060FC: 0B9F9F15
	v_cvt_f32_i32_e32 v208, v208                               // 000000006100: 7FA00BD0
	v_cvt_f32_i32_e32 v209, v209                               // 000000006104: 7FA20BD1
	v_cvt_f32_i32_e32 v210, v210                               // 000000006108: 7FA40BD2
	v_cvt_f32_i32_e32 v211, v211                               // 00000000610C: 7FA60BD3
	v_mul_f32_e32 v208, v24, v208                              // 000000006110: 0BA1A118
	v_mul_f32_e32 v209, v24, v209                              // 000000006114: 0BA3A318
	v_mul_f32_e32 v210, v24, v210                              // 000000006118: 0BA5A518
	v_mul_f32_e32 v211, v24, v211                              // 00000000611C: 0BA7A718
	v_mul_f32_dpp v208, v13, v208 row_newbcast:4 row_mask:0xf bank_mask:0xf// 000000006120: 0BA1A0FA FF01540D
	v_mul_f32_dpp v209, v13, v209 row_newbcast:5 row_mask:0xf bank_mask:0xf// 000000006128: 0BA3A2FA FF01550D
	v_mul_f32_dpp v210, v13, v210 row_newbcast:6 row_mask:0xf bank_mask:0xf// 000000006130: 0BA5A4FA FF01560D
	v_mul_f32_dpp v211, v13, v211 row_newbcast:7 row_mask:0xf bank_mask:0xf// 000000006138: 0BA7A6FA FF01570D
	v_mul_f32_e32 v208, v20, v208                              // 000000006140: 0BA1A114
	v_mul_f32_e32 v209, v20, v209                              // 000000006144: 0BA3A314
	v_mul_f32_e32 v210, v20, v210                              // 000000006148: 0BA5A514
	v_mul_f32_e32 v211, v20, v211                              // 00000000614C: 0BA7A714
	v_cvt_f32_i32_e32 v212, v212                               // 000000006150: 7FA80BD4
	v_cvt_f32_i32_e32 v213, v213                               // 000000006154: 7FAA0BD5
	v_cvt_f32_i32_e32 v214, v214                               // 000000006158: 7FAC0BD6
	v_cvt_f32_i32_e32 v215, v215                               // 00000000615C: 7FAE0BD7
	v_mul_f32_e32 v212, v25, v212                              // 000000006160: 0BA9A919
	v_mul_f32_e32 v213, v25, v213                              // 000000006164: 0BABAB19
	v_mul_f32_e32 v214, v25, v214                              // 000000006168: 0BADAD19
	v_mul_f32_e32 v215, v25, v215                              // 00000000616C: 0BAFAF19
	v_mul_f32_dpp v212, v13, v212 row_newbcast:4 row_mask:0xf bank_mask:0xf// 000000006170: 0BA9A8FA FF01540D
	v_mul_f32_dpp v213, v13, v213 row_newbcast:5 row_mask:0xf bank_mask:0xf// 000000006178: 0BABAAFA FF01550D
	v_mul_f32_dpp v214, v13, v214 row_newbcast:6 row_mask:0xf bank_mask:0xf// 000000006180: 0BADACFA FF01560D
	v_mul_f32_dpp v215, v13, v215 row_newbcast:7 row_mask:0xf bank_mask:0xf// 000000006188: 0BAFAEFA FF01570D
	v_mul_f32_e32 v212, v21, v212                              // 000000006190: 0BA9A915
	v_mul_f32_e32 v213, v21, v213                              // 000000006194: 0BABAB15
	v_mul_f32_e32 v214, v21, v214                              // 000000006198: 0BADAD15
	v_mul_f32_e32 v215, v21, v215                              // 00000000619C: 0BAFAF15
	v_cvt_f32_i32_e32 v216, v216                               // 0000000061A0: 7FB00BD8
	v_cvt_f32_i32_e32 v217, v217                               // 0000000061A4: 7FB20BD9
	v_cvt_f32_i32_e32 v218, v218                               // 0000000061A8: 7FB40BDA
	v_cvt_f32_i32_e32 v219, v219                               // 0000000061AC: 7FB60BDB
	v_mul_f32_e32 v216, v24, v216                              // 0000000061B0: 0BB1B118
	v_mul_f32_e32 v217, v24, v217                              // 0000000061B4: 0BB3B318
	v_mul_f32_e32 v218, v24, v218                              // 0000000061B8: 0BB5B518
	v_mul_f32_e32 v219, v24, v219                              // 0000000061BC: 0BB7B718
	v_mul_f32_dpp v216, v13, v216 row_newbcast:8 row_mask:0xf bank_mask:0xf// 0000000061C0: 0BB1B0FA FF01580D
	v_mul_f32_dpp v217, v13, v217 row_newbcast:9 row_mask:0xf bank_mask:0xf// 0000000061C8: 0BB3B2FA FF01590D
	v_mul_f32_dpp v218, v13, v218 row_newbcast:10 row_mask:0xf bank_mask:0xf// 0000000061D0: 0BB5B4FA FF015A0D
	v_mul_f32_dpp v219, v13, v219 row_newbcast:11 row_mask:0xf bank_mask:0xf// 0000000061D8: 0BB7B6FA FF015B0D
	v_mul_f32_e32 v216, v20, v216                              // 0000000061E0: 0BB1B114
	v_mul_f32_e32 v217, v20, v217                              // 0000000061E4: 0BB3B314
	v_mul_f32_e32 v218, v20, v218                              // 0000000061E8: 0BB5B514
	v_mul_f32_e32 v219, v20, v219                              // 0000000061EC: 0BB7B714
	v_cvt_f32_i32_e32 v220, v220                               // 0000000061F0: 7FB80BDC
	v_cvt_f32_i32_e32 v221, v221                               // 0000000061F4: 7FBA0BDD
	v_cvt_f32_i32_e32 v222, v222                               // 0000000061F8: 7FBC0BDE
	v_cvt_f32_i32_e32 v223, v223                               // 0000000061FC: 7FBE0BDF
	v_mul_f32_e32 v220, v25, v220                              // 000000006200: 0BB9B919
	v_mul_f32_e32 v221, v25, v221                              // 000000006204: 0BBBBB19
	v_mul_f32_e32 v222, v25, v222                              // 000000006208: 0BBDBD19
	v_mul_f32_e32 v223, v25, v223                              // 00000000620C: 0BBFBF19
	v_mul_f32_dpp v220, v13, v220 row_newbcast:8 row_mask:0xf bank_mask:0xf// 000000006210: 0BB9B8FA FF01580D
	v_mul_f32_dpp v221, v13, v221 row_newbcast:9 row_mask:0xf bank_mask:0xf// 000000006218: 0BBBBAFA FF01590D
	v_mul_f32_dpp v222, v13, v222 row_newbcast:10 row_mask:0xf bank_mask:0xf// 000000006220: 0BBDBCFA FF015A0D
	v_mul_f32_dpp v223, v13, v223 row_newbcast:11 row_mask:0xf bank_mask:0xf// 000000006228: 0BBFBEFA FF015B0D
	v_mul_f32_e32 v220, v21, v220                              // 000000006230: 0BB9B915
	v_mul_f32_e32 v221, v21, v221                              // 000000006234: 0BBBBB15
	v_mul_f32_e32 v222, v21, v222                              // 000000006238: 0BBDBD15
	v_mul_f32_e32 v223, v21, v223                              // 00000000623C: 0BBFBF15
	v_cvt_f32_i32_e32 v224, v224                               // 000000006240: 7FC00BE0
	v_cvt_f32_i32_e32 v225, v225                               // 000000006244: 7FC20BE1
	v_cvt_f32_i32_e32 v226, v226                               // 000000006248: 7FC40BE2
	v_cvt_f32_i32_e32 v227, v227                               // 00000000624C: 7FC60BE3
	v_mul_f32_e32 v224, v24, v224                              // 000000006250: 0BC1C118
	v_mul_f32_e32 v225, v24, v225                              // 000000006254: 0BC3C318
	v_mul_f32_e32 v226, v24, v226                              // 000000006258: 0BC5C518
	v_mul_f32_e32 v227, v24, v227                              // 00000000625C: 0BC7C718
	v_mul_f32_dpp v224, v13, v224 row_newbcast:12 row_mask:0xf bank_mask:0xf// 000000006260: 0BC1C0FA FF015C0D
	v_mul_f32_dpp v225, v13, v225 row_newbcast:13 row_mask:0xf bank_mask:0xf// 000000006268: 0BC3C2FA FF015D0D
	v_mul_f32_dpp v226, v13, v226 row_newbcast:14 row_mask:0xf bank_mask:0xf// 000000006270: 0BC5C4FA FF015E0D
	v_mul_f32_dpp v227, v13, v227 row_newbcast:15 row_mask:0xf bank_mask:0xf// 000000006278: 0BC7C6FA FF015F0D
	v_mul_f32_e32 v224, v20, v224                              // 000000006280: 0BC1C114
	v_mul_f32_e32 v225, v20, v225                              // 000000006284: 0BC3C314
	v_mul_f32_e32 v226, v20, v226                              // 000000006288: 0BC5C514
	v_mul_f32_e32 v227, v20, v227                              // 00000000628C: 0BC7C714
	v_cvt_f32_i32_e32 v228, v228                               // 000000006290: 7FC80BE4
	v_cvt_f32_i32_e32 v229, v229                               // 000000006294: 7FCA0BE5
	v_cvt_f32_i32_e32 v230, v230                               // 000000006298: 7FCC0BE6
	v_cvt_f32_i32_e32 v231, v231                               // 00000000629C: 7FCE0BE7
	v_mul_f32_e32 v228, v25, v228                              // 0000000062A0: 0BC9C919
	v_mul_f32_e32 v229, v25, v229                              // 0000000062A4: 0BCBCB19
	v_mul_f32_e32 v230, v25, v230                              // 0000000062A8: 0BCDCD19
	v_mul_f32_e32 v231, v25, v231                              // 0000000062AC: 0BCFCF19
	v_mul_f32_dpp v228, v13, v228 row_newbcast:12 row_mask:0xf bank_mask:0xf// 0000000062B0: 0BC9C8FA FF015C0D
	v_mul_f32_dpp v229, v13, v229 row_newbcast:13 row_mask:0xf bank_mask:0xf// 0000000062B8: 0BCBCAFA FF015D0D
	v_mul_f32_dpp v230, v13, v230 row_newbcast:14 row_mask:0xf bank_mask:0xf// 0000000062C0: 0BCDCCFA FF015E0D
	v_mul_f32_dpp v231, v13, v231 row_newbcast:15 row_mask:0xf bank_mask:0xf// 0000000062C8: 0BCFCEFA FF015F0D
	v_mul_f32_e32 v228, v21, v228                              // 0000000062D0: 0BC9C915
	v_mul_f32_e32 v229, v21, v229                              // 0000000062D4: 0BCBCB15
	v_mul_f32_e32 v230, v21, v230                              // 0000000062D8: 0BCDCD15
	v_mul_f32_e32 v231, v21, v231                              // 0000000062DC: 0BCFCF15
	v_cmp_u_f32_e64 s[48:49], v200, v200                       // 0000000062E0: D0480030 000391C8
	v_add3_u32 v43, v200, v46, 1                               // 0000000062E8: D1FF002B 02065DC8
	v_cndmask_b32_e64 v48, v43, v45, s[48:49]                  // 0000000062F0: D1000030 00C25B2B
	v_cmp_u_f32_e64 s[48:49], v201, v201                       // 0000000062F8: D0480030 000393C9
	v_add3_u32 v43, v201, v46, 1                               // 000000006300: D1FF002B 02065DC9
	v_cndmask_b32_e64 v49, v43, v45, s[48:49]                  // 000000006308: D1000031 00C25B2B
	v_perm_b32 v200, v49, v48, s52                             // 000000006310: D1ED00C8 00D26131
	v_cmp_u_f32_e64 s[48:49], v202, v202                       // 000000006318: D0480030 000395CA
	v_add3_u32 v43, v202, v46, 1                               // 000000006320: D1FF002B 02065DCA
	v_cndmask_b32_e64 v48, v43, v45, s[48:49]                  // 000000006328: D1000030 00C25B2B
	v_cmp_u_f32_e64 s[48:49], v203, v203                       // 000000006330: D0480030 000397CB
	v_add3_u32 v43, v203, v46, 1                               // 000000006338: D1FF002B 02065DCB
	v_cndmask_b32_e64 v49, v43, v45, s[48:49]                  // 000000006340: D1000031 00C25B2B
	v_perm_b32 v201, v49, v48, s52                             // 000000006348: D1ED00C9 00D26131
	v_cmp_u_f32_e64 s[48:49], v204, v204                       // 000000006350: D0480030 000399CC
	v_add3_u32 v43, v204, v46, 1                               // 000000006358: D1FF002B 02065DCC
	v_cndmask_b32_e64 v48, v43, v45, s[48:49]                  // 000000006360: D1000030 00C25B2B
	v_cmp_u_f32_e64 s[48:49], v205, v205                       // 000000006368: D0480030 00039BCD
	v_add3_u32 v43, v205, v46, 1                               // 000000006370: D1FF002B 02065DCD
	v_cndmask_b32_e64 v49, v43, v45, s[48:49]                  // 000000006378: D1000031 00C25B2B
	v_perm_b32 v202, v49, v48, s52                             // 000000006380: D1ED00CA 00D26131
	v_cmp_u_f32_e64 s[48:49], v206, v206                       // 000000006388: D0480030 00039DCE
	v_add3_u32 v43, v206, v46, 1                               // 000000006390: D1FF002B 02065DCE
	v_cndmask_b32_e64 v48, v43, v45, s[48:49]                  // 000000006398: D1000030 00C25B2B
	v_cmp_u_f32_e64 s[48:49], v207, v207                       // 0000000063A0: D0480030 00039FCF
	v_add3_u32 v43, v207, v46, 1                               // 0000000063A8: D1FF002B 02065DCF
	v_cndmask_b32_e64 v49, v43, v45, s[48:49]                  // 0000000063B0: D1000031 00C25B2B
	v_perm_b32 v203, v49, v48, s52                             // 0000000063B8: D1ED00CB 00D26131
	v_cmp_u_f32_e64 s[48:49], v208, v208                       // 0000000063C0: D0480030 0003A1D0
	v_add3_u32 v43, v208, v46, 1                               // 0000000063C8: D1FF002B 02065DD0
	v_cndmask_b32_e64 v48, v43, v45, s[48:49]                  // 0000000063D0: D1000030 00C25B2B
	v_cmp_u_f32_e64 s[48:49], v209, v209                       // 0000000063D8: D0480030 0003A3D1
	v_add3_u32 v43, v209, v46, 1                               // 0000000063E0: D1FF002B 02065DD1
	v_cndmask_b32_e64 v49, v43, v45, s[48:49]                  // 0000000063E8: D1000031 00C25B2B
	v_perm_b32 v204, v49, v48, s52                             // 0000000063F0: D1ED00CC 00D26131
	v_cmp_u_f32_e64 s[48:49], v210, v210                       // 0000000063F8: D0480030 0003A5D2
	v_add3_u32 v43, v210, v46, 1                               // 000000006400: D1FF002B 02065DD2
	v_cndmask_b32_e64 v48, v43, v45, s[48:49]                  // 000000006408: D1000030 00C25B2B
	v_cmp_u_f32_e64 s[48:49], v211, v211                       // 000000006410: D0480030 0003A7D3
	v_add3_u32 v43, v211, v46, 1                               // 000000006418: D1FF002B 02065DD3
	v_cndmask_b32_e64 v49, v43, v45, s[48:49]                  // 000000006420: D1000031 00C25B2B
	v_perm_b32 v205, v49, v48, s52                             // 000000006428: D1ED00CD 00D26131
	v_cmp_u_f32_e64 s[48:49], v212, v212                       // 000000006430: D0480030 0003A9D4
	v_add3_u32 v43, v212, v46, 1                               // 000000006438: D1FF002B 02065DD4
	v_cndmask_b32_e64 v48, v43, v45, s[48:49]                  // 000000006440: D1000030 00C25B2B
	v_cmp_u_f32_e64 s[48:49], v213, v213                       // 000000006448: D0480030 0003ABD5
	v_add3_u32 v43, v213, v46, 1                               // 000000006450: D1FF002B 02065DD5
	v_cndmask_b32_e64 v49, v43, v45, s[48:49]                  // 000000006458: D1000031 00C25B2B
	v_perm_b32 v206, v49, v48, s52                             // 000000006460: D1ED00CE 00D26131
	v_cmp_u_f32_e64 s[48:49], v214, v214                       // 000000006468: D0480030 0003ADD6
	v_add3_u32 v43, v214, v46, 1                               // 000000006470: D1FF002B 02065DD6
	v_cndmask_b32_e64 v48, v43, v45, s[48:49]                  // 000000006478: D1000030 00C25B2B
	v_cmp_u_f32_e64 s[48:49], v215, v215                       // 000000006480: D0480030 0003AFD7
	v_add3_u32 v43, v215, v46, 1                               // 000000006488: D1FF002B 02065DD7
	v_cndmask_b32_e64 v49, v43, v45, s[48:49]                  // 000000006490: D1000031 00C25B2B
	v_perm_b32 v207, v49, v48, s52                             // 000000006498: D1ED00CF 00D26131
	v_cmp_u_f32_e64 s[48:49], v216, v216                       // 0000000064A0: D0480030 0003B1D8
	v_add3_u32 v43, v216, v46, 1                               // 0000000064A8: D1FF002B 02065DD8
	v_cndmask_b32_e64 v48, v43, v45, s[48:49]                  // 0000000064B0: D1000030 00C25B2B
	v_cmp_u_f32_e64 s[48:49], v217, v217                       // 0000000064B8: D0480030 0003B3D9
	v_add3_u32 v43, v217, v46, 1                               // 0000000064C0: D1FF002B 02065DD9
	v_cndmask_b32_e64 v49, v43, v45, s[48:49]                  // 0000000064C8: D1000031 00C25B2B
	v_perm_b32 v208, v49, v48, s52                             // 0000000064D0: D1ED00D0 00D26131
	v_cmp_u_f32_e64 s[48:49], v218, v218                       // 0000000064D8: D0480030 0003B5DA
	v_add3_u32 v43, v218, v46, 1                               // 0000000064E0: D1FF002B 02065DDA
	v_cndmask_b32_e64 v48, v43, v45, s[48:49]                  // 0000000064E8: D1000030 00C25B2B
	v_cmp_u_f32_e64 s[48:49], v219, v219                       // 0000000064F0: D0480030 0003B7DB
	v_add3_u32 v43, v219, v46, 1                               // 0000000064F8: D1FF002B 02065DDB
	v_cndmask_b32_e64 v49, v43, v45, s[48:49]                  // 000000006500: D1000031 00C25B2B
	v_perm_b32 v209, v49, v48, s52                             // 000000006508: D1ED00D1 00D26131
	v_cmp_u_f32_e64 s[48:49], v220, v220                       // 000000006510: D0480030 0003B9DC
	v_add3_u32 v43, v220, v46, 1                               // 000000006518: D1FF002B 02065DDC
	v_cndmask_b32_e64 v48, v43, v45, s[48:49]                  // 000000006520: D1000030 00C25B2B
	v_cmp_u_f32_e64 s[48:49], v221, v221                       // 000000006528: D0480030 0003BBDD
	v_add3_u32 v43, v221, v46, 1                               // 000000006530: D1FF002B 02065DDD
	v_cndmask_b32_e64 v49, v43, v45, s[48:49]                  // 000000006538: D1000031 00C25B2B
	v_perm_b32 v210, v49, v48, s52                             // 000000006540: D1ED00D2 00D26131
	v_cmp_u_f32_e64 s[48:49], v222, v222                       // 000000006548: D0480030 0003BDDE
	v_add3_u32 v43, v222, v46, 1                               // 000000006550: D1FF002B 02065DDE
	v_cndmask_b32_e64 v48, v43, v45, s[48:49]                  // 000000006558: D1000030 00C25B2B
	v_cmp_u_f32_e64 s[48:49], v223, v223                       // 000000006560: D0480030 0003BFDF
	v_add3_u32 v43, v223, v46, 1                               // 000000006568: D1FF002B 02065DDF
	v_cndmask_b32_e64 v49, v43, v45, s[48:49]                  // 000000006570: D1000031 00C25B2B
	v_perm_b32 v211, v49, v48, s52                             // 000000006578: D1ED00D3 00D26131
	v_cmp_u_f32_e64 s[48:49], v224, v224                       // 000000006580: D0480030 0003C1E0
	v_add3_u32 v43, v224, v46, 1                               // 000000006588: D1FF002B 02065DE0
	v_cndmask_b32_e64 v48, v43, v45, s[48:49]                  // 000000006590: D1000030 00C25B2B
	v_cmp_u_f32_e64 s[48:49], v225, v225                       // 000000006598: D0480030 0003C3E1
	v_add3_u32 v43, v225, v46, 1                               // 0000000065A0: D1FF002B 02065DE1
	v_cndmask_b32_e64 v49, v43, v45, s[48:49]                  // 0000000065A8: D1000031 00C25B2B
	v_perm_b32 v212, v49, v48, s52                             // 0000000065B0: D1ED00D4 00D26131
	v_cmp_u_f32_e64 s[48:49], v226, v226                       // 0000000065B8: D0480030 0003C5E2
	v_add3_u32 v43, v226, v46, 1                               // 0000000065C0: D1FF002B 02065DE2
	v_cndmask_b32_e64 v48, v43, v45, s[48:49]                  // 0000000065C8: D1000030 00C25B2B
	v_cmp_u_f32_e64 s[48:49], v227, v227                       // 0000000065D0: D0480030 0003C7E3
	v_add3_u32 v43, v227, v46, 1                               // 0000000065D8: D1FF002B 02065DE3
	v_cndmask_b32_e64 v49, v43, v45, s[48:49]                  // 0000000065E0: D1000031 00C25B2B
	v_perm_b32 v213, v49, v48, s52                             // 0000000065E8: D1ED00D5 00D26131
	v_cmp_u_f32_e64 s[48:49], v228, v228                       // 0000000065F0: D0480030 0003C9E4
	v_add3_u32 v43, v228, v46, 1                               // 0000000065F8: D1FF002B 02065DE4
	v_cndmask_b32_e64 v48, v43, v45, s[48:49]                  // 000000006600: D1000030 00C25B2B
	v_cmp_u_f32_e64 s[48:49], v229, v229                       // 000000006608: D0480030 0003CBE5
	v_add3_u32 v43, v229, v46, 1                               // 000000006610: D1FF002B 02065DE5
	v_cndmask_b32_e64 v49, v43, v45, s[48:49]                  // 000000006618: D1000031 00C25B2B
	v_perm_b32 v214, v49, v48, s52                             // 000000006620: D1ED00D6 00D26131
	v_cmp_u_f32_e64 s[48:49], v230, v230                       // 000000006628: D0480030 0003CDE6
	v_add3_u32 v43, v230, v46, 1                               // 000000006630: D1FF002B 02065DE6
	v_cndmask_b32_e64 v48, v43, v45, s[48:49]                  // 000000006638: D1000030 00C25B2B
	v_cmp_u_f32_e64 s[48:49], v231, v231                       // 000000006640: D0480030 0003CFE7
	v_add3_u32 v43, v231, v46, 1                               // 000000006648: D1FF002B 02065DE7
	v_cndmask_b32_e64 v49, v43, v45, s[48:49]                  // 000000006650: D1000031 00C25B2B
	v_perm_b32 v215, v49, v48, s52                             // 000000006658: D1ED00D7 00D26131
	ds_write_b64 v3, v[200:201] offset:28928                   // 000000006660: D89A7100 0000C803
	ds_write_b64 v3, v[202:203] offset:37632                   // 000000006668: D89A9300 0000CA03
	ds_write_b64 v3, v[204:205] offset:31104                   // 000000006670: D89A7980 0000CC03
	ds_write_b64 v3, v[206:207] offset:39808                   // 000000006678: D89A9B80 0000CE03
	ds_write_b64 v3, v[208:209] offset:33280                   // 000000006680: D89A8200 0000D003
	ds_write_b64 v3, v[210:211] offset:41984                   // 000000006688: D89AA400 0000D203
	ds_write_b64 v3, v[212:213] offset:35456                   // 000000006690: D89A8A80 0000D403
	ds_write_b64 v3, v[214:215] offset:44160                   // 000000006698: D89AAC80 0000D603
	s_waitcnt lgkmcnt(0)                                       // 0000000066A0: BF8CC07F
	s_barrier                                                  // 0000000066A4: BF8A0000
	ds_read_b32 v64, v4 offset:28928                           // 0000000066A8: D86C7100 40000004
	ds_read_b32 v65, v4 offset:33280                           // 0000000066B0: D86C8200 41000004
	ds_read_b32 v66, v4 offset:28960                           // 0000000066B8: D86C7120 42000004
	ds_read_b32 v67, v4 offset:33312                           // 0000000066C0: D86C8220 43000004
	ds_read_b32 v68, v4 offset:28992                           // 0000000066C8: D86C7140 44000004
	ds_read_b32 v69, v4 offset:33344                           // 0000000066D0: D86C8240 45000004
	ds_read_b32 v70, v4 offset:29024                           // 0000000066D8: D86C7160 46000004
	ds_read_b32 v71, v4 offset:33376                           // 0000000066E0: D86C8260 47000004
	ds_read_b32 v72, v4 offset:37632                           // 0000000066E8: D86C9300 48000004
	ds_read_b32 v73, v4 offset:41984                           // 0000000066F0: D86CA400 49000004
	ds_read_b32 v74, v4 offset:37664                           // 0000000066F8: D86C9320 4A000004
	ds_read_b32 v75, v4 offset:42016                           // 000000006700: D86CA420 4B000004
	ds_read_b32 v76, v4 offset:37696                           // 000000006708: D86C9340 4C000004
	ds_read_b32 v77, v4 offset:42048                           // 000000006710: D86CA440 4D000004
	ds_read_b32 v78, v4 offset:37728                           // 000000006718: D86C9360 4E000004
	ds_read_b32 v79, v4 offset:42080                           // 000000006720: D86CA460 4F000004
	s_waitcnt lgkmcnt(0)                                       // 000000006728: BF8CC07F
	s_mov_b64 exec, s[20:21]                                   // 00000000672C: BEFE0114
	global_atomic_pk_add_bf16 v80, v64, s[8:9]                 // 000000006730: DD488000 00084050
	s_mov_b64 exec, s[36:37]                                   // 000000006738: BEFE0124
	s_mov_b64 exec, s[20:21]                                   // 00000000673C: BEFE0114
	global_atomic_pk_add_bf16 v80, v65, s[8:9] offset:256      // 000000006740: DD488100 00084150
	s_mov_b64 exec, s[36:37]                                   // 000000006748: BEFE0124
	s_mov_b64 exec, s[22:23]                                   // 00000000674C: BEFE0116
	global_atomic_pk_add_bf16 v82, v66, s[8:9]                 // 000000006750: DD488000 00084252
	s_mov_b64 exec, s[36:37]                                   // 000000006758: BEFE0124
	s_mov_b64 exec, s[22:23]                                   // 00000000675C: BEFE0116
	global_atomic_pk_add_bf16 v82, v67, s[8:9] offset:256      // 000000006760: DD488100 00084352
	s_mov_b64 exec, s[36:37]                                   // 000000006768: BEFE0124
	s_mov_b64 exec, s[24:25]                                   // 00000000676C: BEFE0118
	global_atomic_pk_add_bf16 v84, v68, s[8:9]                 // 000000006770: DD488000 00084454
	s_mov_b64 exec, s[36:37]                                   // 000000006778: BEFE0124
	s_mov_b64 exec, s[24:25]                                   // 00000000677C: BEFE0118
	global_atomic_pk_add_bf16 v84, v69, s[8:9] offset:256      // 000000006780: DD488100 00084554
	s_mov_b64 exec, s[36:37]                                   // 000000006788: BEFE0124
	s_mov_b64 exec, s[26:27]                                   // 00000000678C: BEFE011A
	global_atomic_pk_add_bf16 v86, v70, s[8:9]                 // 000000006790: DD488000 00084656
	s_mov_b64 exec, s[36:37]                                   // 000000006798: BEFE0124
	s_mov_b64 exec, s[26:27]                                   // 00000000679C: BEFE011A
	global_atomic_pk_add_bf16 v86, v71, s[8:9] offset:256      // 0000000067A0: DD488100 00084756
	s_mov_b64 exec, s[36:37]                                   // 0000000067A8: BEFE0124
	s_mov_b64 exec, s[28:29]                                   // 0000000067AC: BEFE011C
	global_atomic_pk_add_bf16 v88, v72, s[8:9]                 // 0000000067B0: DD488000 00084858
	s_mov_b64 exec, s[36:37]                                   // 0000000067B8: BEFE0124
	s_mov_b64 exec, s[28:29]                                   // 0000000067BC: BEFE011C
	global_atomic_pk_add_bf16 v88, v73, s[8:9] offset:256      // 0000000067C0: DD488100 00084958
	s_mov_b64 exec, s[36:37]                                   // 0000000067C8: BEFE0124
	s_mov_b64 exec, s[30:31]                                   // 0000000067CC: BEFE011E
	global_atomic_pk_add_bf16 v90, v74, s[8:9]                 // 0000000067D0: DD488000 00084A5A
	s_mov_b64 exec, s[36:37]                                   // 0000000067D8: BEFE0124
	s_mov_b64 exec, s[30:31]                                   // 0000000067DC: BEFE011E
	global_atomic_pk_add_bf16 v90, v75, s[8:9] offset:256      // 0000000067E0: DD488100 00084B5A
	s_mov_b64 exec, s[36:37]                                   // 0000000067E8: BEFE0124
	s_mov_b64 exec, s[32:33]                                   // 0000000067EC: BEFE0120
	global_atomic_pk_add_bf16 v92, v76, s[8:9]                 // 0000000067F0: DD488000 00084C5C
	s_mov_b64 exec, s[36:37]                                   // 0000000067F8: BEFE0124
	s_mov_b64 exec, s[32:33]                                   // 0000000067FC: BEFE0120
	global_atomic_pk_add_bf16 v92, v77, s[8:9] offset:256      // 000000006800: DD488100 00084D5C
	s_mov_b64 exec, s[36:37]                                   // 000000006808: BEFE0124
	s_mov_b64 exec, s[34:35]                                   // 00000000680C: BEFE0122
	global_atomic_pk_add_bf16 v94, v78, s[8:9]                 // 000000006810: DD488000 00084E5E
	s_mov_b64 exec, s[36:37]                                   // 000000006818: BEFE0124
	s_mov_b64 exec, s[34:35]                                   // 00000000681C: BEFE0122
	global_atomic_pk_add_bf16 v94, v79, s[8:9] offset:256      // 000000006820: DD488100 00084F5E
	s_mov_b64 exec, s[36:37]                                   // 000000006828: BEFE0124
	s_add_u32 s8, s59, s8                                      // 00000000682C: 8008083B
	s_addc_u32 s9, 0, s9                                       // 000000006830: 82090980
	s_addk_i32 s80, 0x100                                      // 000000006834: B7500100
	s_cmp_lt_i32 s80, s81                                      // 000000006838: BF045150
	s_cbranch_scc0 label_0E91                                  // 00000000683C: BF840001
	s_branch label_08DC                                        // 000000006840: BF82FA4B

0000000000006844 <label_0E91>:
	s_nop 0                                                    // 000000006844: BF800000
	s_nop 0                                                    // 000000006848: BF800000
	s_branch label_1AB4                                        // 00000000684C: BF820C20

0000000000006850 <label_0E94>:
	s_waitcnt vmcnt(12) lgkmcnt(0)                             // 000000006850: BF8C007C
	s_barrier                                                  // 000000006854: BF8A0000
	v_mfma_i32_16x16x32_i8 v[128:131], a[0:1], v[168:169], v[128:131]// 000000006858: D3D70080 0E035100
	buffer_load_dwordx4 a[80:83], v34, s[24:27], 0 offen       // 000000006860: E05C1000 80865022
	v_mfma_i32_16x16x32_i8 v[128:131], a[2:3], v[170:171], v[128:131]// 000000006868: D3D70080 0E035502
	v_mfma_i32_16x16x32_i8 v[128:131], a[4:5], v[172:173], v[128:131]// 000000006870: D3D70080 0E035904
	buffer_load_dword v26, s[20:23], 0 offen lds               // 000000006878: E0511000 8005001A
	s_add_u32 m0, 0x100, s50                                   // 000000006880: 807C32FF 00000100
	v_mfma_i32_16x16x32_i8 v[128:131], a[6:7], v[174:175], v[128:131]// 000000006888: D3D70080 0E035D06
	v_mfma_i32_16x16x32_i8 v[128:131], a[8:9], v[176:177], v[128:131]// 000000006890: D3D70080 0E036108
	buffer_load_dwordx4 a[84:87], v34, s[24:27], 0 offen offset:1024// 000000006898: E05C1400 80865422
	v_mfma_i32_16x16x32_i8 v[128:131], a[10:11], v[178:179], v[128:131]// 0000000068A0: D3D70080 0E03650A
	v_mfma_i32_16x16x32_i8 v[128:131], a[12:13], v[180:181], v[128:131]// 0000000068A8: D3D70080 0E03690C
	buffer_load_dword v27, s[20:23], 0 offen lds               // 0000000068B0: E0511000 8005001B
	s_add_u32 m0, 0x200, s50                                   // 0000000068B8: 807C32FF 00000200
	v_mfma_i32_16x16x32_i8 v[128:131], a[14:15], v[182:183], v[128:131]// 0000000068C0: D3D70080 0E036D0E
	v_mfma_i32_16x16x32_i8 v[132:135], a[0:1], v[184:185], v[132:135]// 0000000068C8: D3D70084 0E137100
	buffer_load_dwordx4 a[88:91], v34, s[24:27], 0 offen offset:2048// 0000000068D0: E05C1800 80865822
	v_mfma_i32_16x16x32_i8 v[132:135], a[2:3], v[186:187], v[132:135]// 0000000068D8: D3D70084 0E137502
	v_mfma_i32_16x16x32_i8 v[132:135], a[4:5], v[188:189], v[132:135]// 0000000068E0: D3D70084 0E137904
	buffer_load_dword v28, s[20:23], 0 offen lds               // 0000000068E8: E0511000 8005001C
	s_add_u32 m0, 0x300, s50                                   // 0000000068F0: 807C32FF 00000300
	v_mfma_i32_16x16x32_i8 v[132:135], a[6:7], v[190:191], v[132:135]// 0000000068F8: D3D70084 0E137D06
	v_mfma_i32_16x16x32_i8 v[132:135], a[8:9], v[192:193], v[132:135]// 000000006900: D3D70084 0E138108
	buffer_load_dwordx4 a[92:95], v34, s[24:27], 0 offen offset:3072// 000000006908: E05C1C00 80865C22
	v_mfma_i32_16x16x32_i8 v[132:135], a[10:11], v[194:195], v[132:135]// 000000006910: D3D70084 0E13850A
	v_mfma_i32_16x16x32_i8 v[132:135], a[12:13], v[196:197], v[132:135]// 000000006918: D3D70084 0E13890C
	buffer_load_dword v29, s[20:23], 0 offen lds               // 000000006920: E0511000 8005001D
	s_add_u32 m0, 0x400, s50                                   // 000000006928: 807C32FF 00000400
	v_mfma_i32_16x16x32_i8 v[132:135], a[14:15], v[198:199], v[132:135]// 000000006930: D3D70084 0E138D0E
	v_mfma_i32_16x16x32_i8 v[136:139], a[16:17], v[168:169], v[136:139]// 000000006938: D3D70088 0E235110
	buffer_load_dwordx4 a[96:99], v35, s[24:27], 0 offen       // 000000006940: E05C1000 80866023
	v_mfma_i32_16x16x32_i8 v[136:139], a[18:19], v[170:171], v[136:139]// 000000006948: D3D70088 0E235512
	v_mfma_i32_16x16x32_i8 v[136:139], a[20:21], v[172:173], v[136:139]// 000000006950: D3D70088 0E235914
	buffer_load_dword v30, s[20:23], 0 offen lds               // 000000006958: E0511000 8005001E
	s_add_u32 m0, 0x500, s50                                   // 000000006960: 807C32FF 00000500
	v_mfma_i32_16x16x32_i8 v[136:139], a[22:23], v[174:175], v[136:139]// 000000006968: D3D70088 0E235D16
	v_mfma_i32_16x16x32_i8 v[136:139], a[24:25], v[176:177], v[136:139]// 000000006970: D3D70088 0E236118
	buffer_load_dwordx4 a[100:103], v35, s[24:27], 0 offen offset:1024// 000000006978: E05C1400 80866423
	v_mfma_i32_16x16x32_i8 v[136:139], a[26:27], v[178:179], v[136:139]// 000000006980: D3D70088 0E23651A
	v_mfma_i32_16x16x32_i8 v[136:139], a[28:29], v[180:181], v[136:139]// 000000006988: D3D70088 0E23691C
	buffer_load_dword v31, s[20:23], 0 offen lds               // 000000006990: E0511000 8005001F
	s_add_u32 m0, 0x600, s50                                   // 000000006998: 807C32FF 00000600
	v_mfma_i32_16x16x32_i8 v[136:139], a[30:31], v[182:183], v[136:139]// 0000000069A0: D3D70088 0E236D1E
	v_mfma_i32_16x16x32_i8 v[140:143], a[16:17], v[184:185], v[140:143]// 0000000069A8: D3D7008C 0E337110
	buffer_load_dwordx4 a[104:107], v35, s[24:27], 0 offen offset:2048// 0000000069B0: E05C1800 80866823
	v_mfma_i32_16x16x32_i8 v[140:143], a[18:19], v[186:187], v[140:143]// 0000000069B8: D3D7008C 0E337512
	v_mfma_i32_16x16x32_i8 v[140:143], a[20:21], v[188:189], v[140:143]// 0000000069C0: D3D7008C 0E337914
	buffer_load_dword v32, s[20:23], 0 offen lds               // 0000000069C8: E0511000 80050020
	s_add_u32 m0, 0x700, s50                                   // 0000000069D0: 807C32FF 00000700
	v_mfma_i32_16x16x32_i8 v[140:143], a[22:23], v[190:191], v[140:143]// 0000000069D8: D3D7008C 0E337D16
	v_mfma_i32_16x16x32_i8 v[140:143], a[24:25], v[192:193], v[140:143]// 0000000069E0: D3D7008C 0E338118
	buffer_load_dwordx4 a[108:111], v35, s[24:27], 0 offen offset:3072// 0000000069E8: E05C1C00 80866C23
	v_mfma_i32_16x16x32_i8 v[140:143], a[26:27], v[194:195], v[140:143]// 0000000069F0: D3D7008C 0E33851A
	v_mfma_i32_16x16x32_i8 v[140:143], a[28:29], v[196:197], v[140:143]// 0000000069F8: D3D7008C 0E33891C
	buffer_load_dword v33, s[20:23], 0 offen lds               // 000000006A00: E0511000 80050021
	s_add_u32 m0, 0, s51                                       // 000000006A08: 807C3380
	v_mfma_i32_16x16x32_i8 v[140:143], a[30:31], v[198:199], v[140:143]// 000000006A0C: D3D7008C 0E338D1E
	s_waitcnt vmcnt(24)                                        // 000000006A14: BF8C4F78
	v_mfma_i32_16x16x32_i8 v[144:147], a[32:33], v[168:169], v[144:147]// 000000006A18: D3D70090 0E435120
	buffer_load_dwordx4 a[112:115], v36, s[24:27], 0 offen     // 000000006A20: E05C1000 80867024
	v_mfma_i32_16x16x32_i8 v[144:147], a[34:35], v[170:171], v[144:147]// 000000006A28: D3D70090 0E435522
	v_mfma_i32_16x16x32_i8 v[144:147], a[36:37], v[172:173], v[144:147]// 000000006A30: D3D70090 0E435924
	ds_read_b128 v[200:203], v2 offset:8320                    // 000000006A38: D9FE2080 C8000002
	v_mfma_i32_16x16x32_i8 v[144:147], a[38:39], v[174:175], v[144:147]// 000000006A40: D3D70090 0E435D26
	v_mfma_i32_16x16x32_i8 v[144:147], a[40:41], v[176:177], v[144:147]// 000000006A48: D3D70090 0E436128
	buffer_load_dwordx4 a[116:119], v36, s[24:27], 0 offen offset:1024// 000000006A50: E05C1400 80867424
	v_mfma_i32_16x16x32_i8 v[144:147], a[42:43], v[178:179], v[144:147]// 000000006A58: D3D70090 0E43652A
	v_mfma_i32_16x16x32_i8 v[144:147], a[44:45], v[180:181], v[144:147]// 000000006A60: D3D70090 0E43692C
	ds_read_b128 v[204:207], v2 offset:8384                    // 000000006A68: D9FE20C0 CC000002
	v_mfma_i32_16x16x32_i8 v[144:147], a[46:47], v[182:183], v[144:147]// 000000006A70: D3D70090 0E436D2E
	v_mfma_i32_16x16x32_i8 v[148:151], a[32:33], v[184:185], v[148:151]// 000000006A78: D3D70094 0E537120
	buffer_load_dwordx4 a[120:123], v36, s[24:27], 0 offen offset:2048// 000000006A80: E05C1800 80867824
	v_mfma_i32_16x16x32_i8 v[148:151], a[34:35], v[186:187], v[148:151]// 000000006A88: D3D70094 0E537522
	v_mfma_i32_16x16x32_i8 v[148:151], a[36:37], v[188:189], v[148:151]// 000000006A90: D3D70094 0E537924
	ds_read_b128 v[208:211], v2 offset:8448                    // 000000006A98: D9FE2100 D0000002
	v_mfma_i32_16x16x32_i8 v[148:151], a[38:39], v[190:191], v[148:151]// 000000006AA0: D3D70094 0E537D26
	v_mfma_i32_16x16x32_i8 v[148:151], a[40:41], v[192:193], v[148:151]// 000000006AA8: D3D70094 0E538128
	buffer_load_dwordx4 a[124:127], v36, s[24:27], 0 offen offset:3072// 000000006AB0: E05C1C00 80867C24
	v_mfma_i32_16x16x32_i8 v[148:151], a[42:43], v[194:195], v[148:151]// 000000006AB8: D3D70094 0E53852A
	v_mfma_i32_16x16x32_i8 v[148:151], a[44:45], v[196:197], v[148:151]// 000000006AC0: D3D70094 0E53892C
	ds_read_b128 v[212:215], v2 offset:8512                    // 000000006AC8: D9FE2140 D4000002
	v_mfma_i32_16x16x32_i8 v[148:151], a[46:47], v[198:199], v[148:151]// 000000006AD0: D3D70094 0E538D2E
	s_waitcnt vmcnt(24)                                        // 000000006AD8: BF8C4F78
	v_mfma_i32_16x16x32_i8 v[152:155], a[48:49], v[168:169], v[152:155]// 000000006ADC: D3D70098 0E635130
	buffer_load_dwordx4 a[128:131], v37, s[24:27], 0 offen     // 000000006AE4: E05C1000 80868025
	v_mfma_i32_16x16x32_i8 v[152:155], a[50:51], v[170:171], v[152:155]// 000000006AEC: D3D70098 0E635532
	v_mfma_i32_16x16x32_i8 v[152:155], a[52:53], v[172:173], v[152:155]// 000000006AF4: D3D70098 0E635934
	ds_read_b128 v[216:219], v2 offset:9344                    // 000000006AFC: D9FE2480 D8000002
	v_mfma_i32_16x16x32_i8 v[152:155], a[54:55], v[174:175], v[152:155]// 000000006B04: D3D70098 0E635D36
	v_mfma_i32_16x16x32_i8 v[152:155], a[56:57], v[176:177], v[152:155]// 000000006B0C: D3D70098 0E636138
	buffer_load_dwordx4 a[132:135], v37, s[24:27], 0 offen offset:1024// 000000006B14: E05C1400 80868425
	v_mfma_i32_16x16x32_i8 v[152:155], a[58:59], v[178:179], v[152:155]// 000000006B1C: D3D70098 0E63653A
	v_mfma_i32_16x16x32_i8 v[152:155], a[60:61], v[180:181], v[152:155]// 000000006B24: D3D70098 0E63693C
	ds_read_b128 v[220:223], v2 offset:9408                    // 000000006B2C: D9FE24C0 DC000002
	v_mfma_i32_16x16x32_i8 v[152:155], a[62:63], v[182:183], v[152:155]// 000000006B34: D3D70098 0E636D3E
	v_mfma_i32_16x16x32_i8 v[156:159], a[48:49], v[184:185], v[156:159]// 000000006B3C: D3D7009C 0E737130
	buffer_load_dwordx4 a[136:139], v37, s[24:27], 0 offen offset:2048// 000000006B44: E05C1800 80868825
	v_mfma_i32_16x16x32_i8 v[156:159], a[50:51], v[186:187], v[156:159]// 000000006B4C: D3D7009C 0E737532
	v_mfma_i32_16x16x32_i8 v[156:159], a[52:53], v[188:189], v[156:159]// 000000006B54: D3D7009C 0E737934
	ds_read_b128 v[224:227], v2 offset:9472                    // 000000006B5C: D9FE2500 E0000002
	v_mfma_i32_16x16x32_i8 v[156:159], a[54:55], v[190:191], v[156:159]// 000000006B64: D3D7009C 0E737D36
	v_mfma_i32_16x16x32_i8 v[156:159], a[56:57], v[192:193], v[156:159]// 000000006B6C: D3D7009C 0E738138
	buffer_load_dwordx4 a[140:143], v37, s[24:27], 0 offen offset:3072// 000000006B74: E05C1C00 80868C25
	v_mfma_i32_16x16x32_i8 v[156:159], a[58:59], v[194:195], v[156:159]// 000000006B7C: D3D7009C 0E73853A
	v_mfma_i32_16x16x32_i8 v[156:159], a[60:61], v[196:197], v[156:159]// 000000006B84: D3D7009C 0E73893C
	ds_read_b128 v[228:231], v2 offset:9536                    // 000000006B8C: D9FE2540 E4000002
	v_mfma_i32_16x16x32_i8 v[156:159], a[62:63], v[198:199], v[156:159]// 000000006B94: D3D7009C 0E738D3E
	s_waitcnt vmcnt(24)                                        // 000000006B9C: BF8C4F78
	v_mfma_i32_16x16x32_i8 v[160:163], a[64:65], v[168:169], v[160:163]// 000000006BA0: D3D700A0 0E835140
	buffer_load_dwordx4 a[144:147], v38, s[24:27], 0 offen     // 000000006BA8: E05C1000 80869026
	v_mfma_i32_16x16x32_i8 v[160:163], a[66:67], v[170:171], v[160:163]// 000000006BB0: D3D700A0 0E835542
	v_mfma_i32_16x16x32_i8 v[160:163], a[68:69], v[172:173], v[160:163]// 000000006BB8: D3D700A0 0E835944
	v_mfma_i32_16x16x32_i8 v[160:163], a[70:71], v[174:175], v[160:163]// 000000006BC0: D3D700A0 0E835D46
	v_mfma_i32_16x16x32_i8 v[160:163], a[72:73], v[176:177], v[160:163]// 000000006BC8: D3D700A0 0E836148
	buffer_load_dwordx4 a[148:151], v38, s[24:27], 0 offen offset:1024// 000000006BD0: E05C1400 80869426
	v_mfma_i32_16x16x32_i8 v[160:163], a[74:75], v[178:179], v[160:163]// 000000006BD8: D3D700A0 0E83654A
	v_mfma_i32_16x16x32_i8 v[160:163], a[76:77], v[180:181], v[160:163]// 000000006BE0: D3D700A0 0E83694C
	v_mfma_i32_16x16x32_i8 v[160:163], a[78:79], v[182:183], v[160:163]// 000000006BE8: D3D700A0 0E836D4E
	v_mfma_i32_16x16x32_i8 v[164:167], a[64:65], v[184:185], v[164:167]// 000000006BF0: D3D700A4 0E937140
	buffer_load_dwordx4 a[152:155], v38, s[24:27], 0 offen offset:2048// 000000006BF8: E05C1800 80869826
	v_mfma_i32_16x16x32_i8 v[164:167], a[66:67], v[186:187], v[164:167]// 000000006C00: D3D700A4 0E937542
	v_mfma_i32_16x16x32_i8 v[164:167], a[68:69], v[188:189], v[164:167]// 000000006C08: D3D700A4 0E937944
	v_mfma_i32_16x16x32_i8 v[164:167], a[70:71], v[190:191], v[164:167]// 000000006C10: D3D700A4 0E937D46
	v_mfma_i32_16x16x32_i8 v[164:167], a[72:73], v[192:193], v[164:167]// 000000006C18: D3D700A4 0E938148
	buffer_load_dwordx4 a[156:159], v38, s[24:27], 0 offen offset:3072// 000000006C20: E05C1C00 80869C26
	v_mfma_i32_16x16x32_i8 v[164:167], a[74:75], v[194:195], v[164:167]// 000000006C28: D3D700A4 0E93854A
	v_mfma_i32_16x16x32_i8 v[164:167], a[76:77], v[196:197], v[164:167]// 000000006C30: D3D700A4 0E93894C
	v_mfma_i32_16x16x32_i8 v[164:167], a[78:79], v[198:199], v[164:167]// 000000006C38: D3D700A4 0E938D4E
	s_add_u32 s60, 0x300, s80                                  // 000000006C40: 803C50FF 00000300
	s_cmp_lt_u32 s60, s81                                      // 000000006C48: BF0A513C
	s_cselect_b32 s57, s57, 0                                  // 000000006C4C: 85398039
	s_add_u32 s60, 0x200, s80                                  // 000000006C50: 803C50FF 00000200
	s_cmp_lt_u32 s60, s81                                      // 000000006C58: BF0A513C
	s_cselect_b32 s58, s58, 0                                  // 000000006C5C: 853A803A
	s_add_u32 s20, s57, s20                                    // 000000006C60: 80141439
	s_addc_u32 s21, 0, s21                                     // 000000006C64: 82151580
	s_add_u32 s24, s58, s24                                    // 000000006C68: 8018183A
	s_addc_u32 s25, 0, s25                                     // 000000006C6C: 82191980
	s_addk_i32 s80, 0x100                                      // 000000006C70: B7500100
	s_cmp_lt_i32 s80, s81                                      // 000000006C74: BF045150
	s_cbranch_scc0 label_10AB                                  // 000000006C78: BF84010C
	s_waitcnt vmcnt(12) lgkmcnt(0)                             // 000000006C7C: BF8C007C
	s_barrier                                                  // 000000006C80: BF8A0000
	v_mfma_i32_16x16x32_i8 v[128:131], a[80:81], v[200:201], v[128:131]// 000000006C84: D3D70080 0E039150
	buffer_load_dwordx4 a[0:3], v34, s[24:27], 0 offen         // 000000006C8C: E05C1000 80860022
	v_mfma_i32_16x16x32_i8 v[128:131], a[82:83], v[202:203], v[128:131]// 000000006C94: D3D70080 0E039552
	v_mfma_i32_16x16x32_i8 v[128:131], a[84:85], v[204:205], v[128:131]// 000000006C9C: D3D70080 0E039954
	buffer_load_dword v26, s[20:23], 0 offen lds               // 000000006CA4: E0511000 8005001A
	s_add_u32 m0, 0x100, s51                                   // 000000006CAC: 807C33FF 00000100
	v_mfma_i32_16x16x32_i8 v[128:131], a[86:87], v[206:207], v[128:131]// 000000006CB4: D3D70080 0E039D56
	v_mfma_i32_16x16x32_i8 v[128:131], a[88:89], v[208:209], v[128:131]// 000000006CBC: D3D70080 0E03A158
	buffer_load_dwordx4 a[4:7], v34, s[24:27], 0 offen offset:1024// 000000006CC4: E05C1400 80860422
	v_mfma_i32_16x16x32_i8 v[128:131], a[90:91], v[210:211], v[128:131]// 000000006CCC: D3D70080 0E03A55A
	v_mfma_i32_16x16x32_i8 v[128:131], a[92:93], v[212:213], v[128:131]// 000000006CD4: D3D70080 0E03A95C
	buffer_load_dword v27, s[20:23], 0 offen lds               // 000000006CDC: E0511000 8005001B
	s_add_u32 m0, 0x200, s51                                   // 000000006CE4: 807C33FF 00000200
	v_mfma_i32_16x16x32_i8 v[128:131], a[94:95], v[214:215], v[128:131]// 000000006CEC: D3D70080 0E03AD5E
	v_mfma_i32_16x16x32_i8 v[132:135], a[80:81], v[216:217], v[132:135]// 000000006CF4: D3D70084 0E13B150
	buffer_load_dwordx4 a[8:11], v34, s[24:27], 0 offen offset:2048// 000000006CFC: E05C1800 80860822
	v_mfma_i32_16x16x32_i8 v[132:135], a[82:83], v[218:219], v[132:135]// 000000006D04: D3D70084 0E13B552
	v_mfma_i32_16x16x32_i8 v[132:135], a[84:85], v[220:221], v[132:135]// 000000006D0C: D3D70084 0E13B954
	buffer_load_dword v28, s[20:23], 0 offen lds               // 000000006D14: E0511000 8005001C
	s_add_u32 m0, 0x300, s51                                   // 000000006D1C: 807C33FF 00000300
	v_mfma_i32_16x16x32_i8 v[132:135], a[86:87], v[222:223], v[132:135]// 000000006D24: D3D70084 0E13BD56
	v_mfma_i32_16x16x32_i8 v[132:135], a[88:89], v[224:225], v[132:135]// 000000006D2C: D3D70084 0E13C158
	buffer_load_dwordx4 a[12:15], v34, s[24:27], 0 offen offset:3072// 000000006D34: E05C1C00 80860C22
	v_mfma_i32_16x16x32_i8 v[132:135], a[90:91], v[226:227], v[132:135]// 000000006D3C: D3D70084 0E13C55A
	v_mfma_i32_16x16x32_i8 v[132:135], a[92:93], v[228:229], v[132:135]// 000000006D44: D3D70084 0E13C95C
	buffer_load_dword v29, s[20:23], 0 offen lds               // 000000006D4C: E0511000 8005001D
	s_add_u32 m0, 0x400, s51                                   // 000000006D54: 807C33FF 00000400
	v_mfma_i32_16x16x32_i8 v[132:135], a[94:95], v[230:231], v[132:135]// 000000006D5C: D3D70084 0E13CD5E
	v_mfma_i32_16x16x32_i8 v[136:139], a[96:97], v[200:201], v[136:139]// 000000006D64: D3D70088 0E239160
	buffer_load_dwordx4 a[16:19], v35, s[24:27], 0 offen       // 000000006D6C: E05C1000 80861023
	v_mfma_i32_16x16x32_i8 v[136:139], a[98:99], v[202:203], v[136:139]// 000000006D74: D3D70088 0E239562
	v_mfma_i32_16x16x32_i8 v[136:139], a[100:101], v[204:205], v[136:139]// 000000006D7C: D3D70088 0E239964
	buffer_load_dword v30, s[20:23], 0 offen lds               // 000000006D84: E0511000 8005001E
	s_add_u32 m0, 0x500, s51                                   // 000000006D8C: 807C33FF 00000500
	v_mfma_i32_16x16x32_i8 v[136:139], a[102:103], v[206:207], v[136:139]// 000000006D94: D3D70088 0E239D66
	v_mfma_i32_16x16x32_i8 v[136:139], a[104:105], v[208:209], v[136:139]// 000000006D9C: D3D70088 0E23A168
	buffer_load_dwordx4 a[20:23], v35, s[24:27], 0 offen offset:1024// 000000006DA4: E05C1400 80861423
	v_mfma_i32_16x16x32_i8 v[136:139], a[106:107], v[210:211], v[136:139]// 000000006DAC: D3D70088 0E23A56A
	v_mfma_i32_16x16x32_i8 v[136:139], a[108:109], v[212:213], v[136:139]// 000000006DB4: D3D70088 0E23A96C
	buffer_load_dword v31, s[20:23], 0 offen lds               // 000000006DBC: E0511000 8005001F
	s_add_u32 m0, 0x600, s51                                   // 000000006DC4: 807C33FF 00000600
	v_mfma_i32_16x16x32_i8 v[136:139], a[110:111], v[214:215], v[136:139]// 000000006DCC: D3D70088 0E23AD6E
	v_mfma_i32_16x16x32_i8 v[140:143], a[96:97], v[216:217], v[140:143]// 000000006DD4: D3D7008C 0E33B160
	buffer_load_dwordx4 a[24:27], v35, s[24:27], 0 offen offset:2048// 000000006DDC: E05C1800 80861823
	v_mfma_i32_16x16x32_i8 v[140:143], a[98:99], v[218:219], v[140:143]// 000000006DE4: D3D7008C 0E33B562
	v_mfma_i32_16x16x32_i8 v[140:143], a[100:101], v[220:221], v[140:143]// 000000006DEC: D3D7008C 0E33B964
	buffer_load_dword v32, s[20:23], 0 offen lds               // 000000006DF4: E0511000 80050020
	s_add_u32 m0, 0x700, s51                                   // 000000006DFC: 807C33FF 00000700
	v_mfma_i32_16x16x32_i8 v[140:143], a[102:103], v[222:223], v[140:143]// 000000006E04: D3D7008C 0E33BD66
	v_mfma_i32_16x16x32_i8 v[140:143], a[104:105], v[224:225], v[140:143]// 000000006E0C: D3D7008C 0E33C168
	buffer_load_dwordx4 a[28:31], v35, s[24:27], 0 offen offset:3072// 000000006E14: E05C1C00 80861C23
	v_mfma_i32_16x16x32_i8 v[140:143], a[106:107], v[226:227], v[140:143]// 000000006E1C: D3D7008C 0E33C56A
	v_mfma_i32_16x16x32_i8 v[140:143], a[108:109], v[228:229], v[140:143]// 000000006E24: D3D7008C 0E33C96C
	buffer_load_dword v33, s[20:23], 0 offen lds               // 000000006E2C: E0511000 80050021
	s_add_u32 m0, 0, s50                                       // 000000006E34: 807C3280
	v_mfma_i32_16x16x32_i8 v[140:143], a[110:111], v[230:231], v[140:143]// 000000006E38: D3D7008C 0E33CD6E
	s_waitcnt vmcnt(24)                                        // 000000006E40: BF8C4F78
	v_mfma_i32_16x16x32_i8 v[144:147], a[112:113], v[200:201], v[144:147]// 000000006E44: D3D70090 0E439170
	buffer_load_dwordx4 a[32:35], v36, s[24:27], 0 offen       // 000000006E4C: E05C1000 80862024
	v_mfma_i32_16x16x32_i8 v[144:147], a[114:115], v[202:203], v[144:147]// 000000006E54: D3D70090 0E439572
	v_mfma_i32_16x16x32_i8 v[144:147], a[116:117], v[204:205], v[144:147]// 000000006E5C: D3D70090 0E439974
	ds_read_b128 v[168:171], v2                                // 000000006E64: D9FE0000 A8000002
	v_mfma_i32_16x16x32_i8 v[144:147], a[118:119], v[206:207], v[144:147]// 000000006E6C: D3D70090 0E439D76
	v_mfma_i32_16x16x32_i8 v[144:147], a[120:121], v[208:209], v[144:147]// 000000006E74: D3D70090 0E43A178
	buffer_load_dwordx4 a[36:39], v36, s[24:27], 0 offen offset:1024// 000000006E7C: E05C1400 80862424
	v_mfma_i32_16x16x32_i8 v[144:147], a[122:123], v[210:211], v[144:147]// 000000006E84: D3D70090 0E43A57A
	v_mfma_i32_16x16x32_i8 v[144:147], a[124:125], v[212:213], v[144:147]// 000000006E8C: D3D70090 0E43A97C
	ds_read_b128 v[172:175], v2 offset:64                      // 000000006E94: D9FE0040 AC000002
	v_mfma_i32_16x16x32_i8 v[144:147], a[126:127], v[214:215], v[144:147]// 000000006E9C: D3D70090 0E43AD7E
	v_mfma_i32_16x16x32_i8 v[148:151], a[112:113], v[216:217], v[148:151]// 000000006EA4: D3D70094 0E53B170
	buffer_load_dwordx4 a[40:43], v36, s[24:27], 0 offen offset:2048// 000000006EAC: E05C1800 80862824
	v_mfma_i32_16x16x32_i8 v[148:151], a[114:115], v[218:219], v[148:151]// 000000006EB4: D3D70094 0E53B572
	v_mfma_i32_16x16x32_i8 v[148:151], a[116:117], v[220:221], v[148:151]// 000000006EBC: D3D70094 0E53B974
	ds_read_b128 v[176:179], v2 offset:128                     // 000000006EC4: D9FE0080 B0000002
	v_mfma_i32_16x16x32_i8 v[148:151], a[118:119], v[222:223], v[148:151]// 000000006ECC: D3D70094 0E53BD76
	v_mfma_i32_16x16x32_i8 v[148:151], a[120:121], v[224:225], v[148:151]// 000000006ED4: D3D70094 0E53C178
	buffer_load_dwordx4 a[44:47], v36, s[24:27], 0 offen offset:3072// 000000006EDC: E05C1C00 80862C24
	v_mfma_i32_16x16x32_i8 v[148:151], a[122:123], v[226:227], v[148:151]// 000000006EE4: D3D70094 0E53C57A
	v_mfma_i32_16x16x32_i8 v[148:151], a[124:125], v[228:229], v[148:151]// 000000006EEC: D3D70094 0E53C97C
	ds_read_b128 v[180:183], v2 offset:192                     // 000000006EF4: D9FE00C0 B4000002
	v_mfma_i32_16x16x32_i8 v[148:151], a[126:127], v[230:231], v[148:151]// 000000006EFC: D3D70094 0E53CD7E
	s_waitcnt vmcnt(24)                                        // 000000006F04: BF8C4F78
	v_mfma_i32_16x16x32_i8 v[152:155], a[128:129], v[200:201], v[152:155]// 000000006F08: D3D70098 0E639180
	buffer_load_dwordx4 a[48:51], v37, s[24:27], 0 offen       // 000000006F10: E05C1000 80863025
	v_mfma_i32_16x16x32_i8 v[152:155], a[130:131], v[202:203], v[152:155]// 000000006F18: D3D70098 0E639582
	v_mfma_i32_16x16x32_i8 v[152:155], a[132:133], v[204:205], v[152:155]// 000000006F20: D3D70098 0E639984
	ds_read_b128 v[184:187], v2 offset:1024                    // 000000006F28: D9FE0400 B8000002
	v_mfma_i32_16x16x32_i8 v[152:155], a[134:135], v[206:207], v[152:155]// 000000006F30: D3D70098 0E639D86
	v_mfma_i32_16x16x32_i8 v[152:155], a[136:137], v[208:209], v[152:155]// 000000006F38: D3D70098 0E63A188
	buffer_load_dwordx4 a[52:55], v37, s[24:27], 0 offen offset:1024// 000000006F40: E05C1400 80863425
	v_mfma_i32_16x16x32_i8 v[152:155], a[138:139], v[210:211], v[152:155]// 000000006F48: D3D70098 0E63A58A
	v_mfma_i32_16x16x32_i8 v[152:155], a[140:141], v[212:213], v[152:155]// 000000006F50: D3D70098 0E63A98C
	ds_read_b128 v[188:191], v2 offset:1088                    // 000000006F58: D9FE0440 BC000002
	v_mfma_i32_16x16x32_i8 v[152:155], a[142:143], v[214:215], v[152:155]// 000000006F60: D3D70098 0E63AD8E
	v_mfma_i32_16x16x32_i8 v[156:159], a[128:129], v[216:217], v[156:159]// 000000006F68: D3D7009C 0E73B180
	buffer_load_dwordx4 a[56:59], v37, s[24:27], 0 offen offset:2048// 000000006F70: E05C1800 80863825
	v_mfma_i32_16x16x32_i8 v[156:159], a[130:131], v[218:219], v[156:159]// 000000006F78: D3D7009C 0E73B582
	v_mfma_i32_16x16x32_i8 v[156:159], a[132:133], v[220:221], v[156:159]// 000000006F80: D3D7009C 0E73B984
	ds_read_b128 v[192:195], v2 offset:1152                    // 000000006F88: D9FE0480 C0000002
	v_mfma_i32_16x16x32_i8 v[156:159], a[134:135], v[222:223], v[156:159]// 000000006F90: D3D7009C 0E73BD86
	v_mfma_i32_16x16x32_i8 v[156:159], a[136:137], v[224:225], v[156:159]// 000000006F98: D3D7009C 0E73C188
	buffer_load_dwordx4 a[60:63], v37, s[24:27], 0 offen offset:3072// 000000006FA0: E05C1C00 80863C25
	v_mfma_i32_16x16x32_i8 v[156:159], a[138:139], v[226:227], v[156:159]// 000000006FA8: D3D7009C 0E73C58A
	v_mfma_i32_16x16x32_i8 v[156:159], a[140:141], v[228:229], v[156:159]// 000000006FB0: D3D7009C 0E73C98C
	ds_read_b128 v[196:199], v2 offset:1216                    // 000000006FB8: D9FE04C0 C4000002
	v_mfma_i32_16x16x32_i8 v[156:159], a[142:143], v[230:231], v[156:159]// 000000006FC0: D3D7009C 0E73CD8E
	s_waitcnt vmcnt(24)                                        // 000000006FC8: BF8C4F78
	v_mfma_i32_16x16x32_i8 v[160:163], a[144:145], v[200:201], v[160:163]// 000000006FCC: D3D700A0 0E839190
	buffer_load_dwordx4 a[64:67], v38, s[24:27], 0 offen       // 000000006FD4: E05C1000 80864026
	v_mfma_i32_16x16x32_i8 v[160:163], a[146:147], v[202:203], v[160:163]// 000000006FDC: D3D700A0 0E839592
	v_mfma_i32_16x16x32_i8 v[160:163], a[148:149], v[204:205], v[160:163]// 000000006FE4: D3D700A0 0E839994
	v_mfma_i32_16x16x32_i8 v[160:163], a[150:151], v[206:207], v[160:163]// 000000006FEC: D3D700A0 0E839D96
	v_mfma_i32_16x16x32_i8 v[160:163], a[152:153], v[208:209], v[160:163]// 000000006FF4: D3D700A0 0E83A198
	buffer_load_dwordx4 a[68:71], v38, s[24:27], 0 offen offset:1024// 000000006FFC: E05C1400 80864426
	v_mfma_i32_16x16x32_i8 v[160:163], a[154:155], v[210:211], v[160:163]// 000000007004: D3D700A0 0E83A59A
	v_mfma_i32_16x16x32_i8 v[160:163], a[156:157], v[212:213], v[160:163]// 00000000700C: D3D700A0 0E83A99C
	v_mfma_i32_16x16x32_i8 v[160:163], a[158:159], v[214:215], v[160:163]// 000000007014: D3D700A0 0E83AD9E
	v_mfma_i32_16x16x32_i8 v[164:167], a[144:145], v[216:217], v[164:167]// 00000000701C: D3D700A4 0E93B190
	buffer_load_dwordx4 a[72:75], v38, s[24:27], 0 offen offset:2048// 000000007024: E05C1800 80864826
	v_mfma_i32_16x16x32_i8 v[164:167], a[146:147], v[218:219], v[164:167]// 00000000702C: D3D700A4 0E93B592
	v_mfma_i32_16x16x32_i8 v[164:167], a[148:149], v[220:221], v[164:167]// 000000007034: D3D700A4 0E93B994
	v_mfma_i32_16x16x32_i8 v[164:167], a[150:151], v[222:223], v[164:167]// 00000000703C: D3D700A4 0E93BD96
	v_mfma_i32_16x16x32_i8 v[164:167], a[152:153], v[224:225], v[164:167]// 000000007044: D3D700A4 0E93C198
	buffer_load_dwordx4 a[76:79], v38, s[24:27], 0 offen offset:3072// 00000000704C: E05C1C00 80864C26
	v_mfma_i32_16x16x32_i8 v[164:167], a[154:155], v[226:227], v[164:167]// 000000007054: D3D700A4 0E93C59A
	v_mfma_i32_16x16x32_i8 v[164:167], a[156:157], v[228:229], v[164:167]// 00000000705C: D3D700A4 0E93C99C
	v_mfma_i32_16x16x32_i8 v[164:167], a[158:159], v[230:231], v[164:167]// 000000007064: D3D700A4 0E93CD9E
	s_add_u32 s60, 0x300, s80                                  // 00000000706C: 803C50FF 00000300
	s_cmp_lt_u32 s60, s81                                      // 000000007074: BF0A513C
	s_cselect_b32 s57, s57, 0                                  // 000000007078: 85398039
	s_add_u32 s60, 0x200, s80                                  // 00000000707C: 803C50FF 00000200
	s_cmp_lt_u32 s60, s81                                      // 000000007084: BF0A513C
	s_cselect_b32 s58, s58, 0                                  // 000000007088: 853A803A
	s_add_u32 s20, s57, s20                                    // 00000000708C: 80141439
	s_addc_u32 s21, 0, s21                                     // 000000007090: 82151580
	s_add_u32 s24, s58, s24                                    // 000000007094: 8018183A
	s_addc_u32 s25, 0, s25                                     // 000000007098: 82191980
	s_addk_i32 s80, 0x100                                      // 00000000709C: B7500100
	s_cmp_lt_i32 s80, s81                                      // 0000000070A0: BF045150
	s_cbranch_scc0 label_10AB                                  // 0000000070A4: BF840001
	s_branch label_0E94                                        // 0000000070A8: BF82FDE9

00000000000070ac <label_10AB>:
	s_mov_b32 s36, -1                                          // 0000000070AC: BEA400C1
	s_mov_b32 s37, -1                                          // 0000000070B0: BEA500C1
	s_mov_b64 s[60:61], 0                                      // 0000000070B4: BEBC0180
	s_cmp_lt_u32 s82, s66                                      // 0000000070B8: BF0A4252
	s_cselect_b64 s[20:21], s[36:37], s[60:61]                 // 0000000070BC: 85943C24
	s_cmp_lt_u32 s83, s66                                      // 0000000070C0: BF0A4253
	s_cselect_b64 s[22:23], s[36:37], s[60:61]                 // 0000000070C4: 85963C24
	s_cmp_lt_u32 s84, s66                                      // 0000000070C8: BF0A4254
	s_cselect_b64 s[24:25], s[36:37], s[60:61]                 // 0000000070CC: 85983C24
	s_cmp_lt_u32 s85, s66                                      // 0000000070D0: BF0A4255
	s_cselect_b64 s[26:27], s[36:37], s[60:61]                 // 0000000070D4: 859A3C24
	s_cmp_lt_u32 s86, s66                                      // 0000000070D8: BF0A4256
	s_cselect_b64 s[28:29], s[36:37], s[60:61]                 // 0000000070DC: 859C3C24
	s_cmp_lt_u32 s87, s66                                      // 0000000070E0: BF0A4257
	s_cselect_b64 s[30:31], s[36:37], s[60:61]                 // 0000000070E4: 859E3C24
	s_cmp_lt_u32 s88, s66                                      // 0000000070E8: BF0A4258
	s_cselect_b64 s[32:33], s[36:37], s[60:61]                 // 0000000070EC: 85A03C24
	s_cmp_lt_u32 s89, s66                                      // 0000000070F0: BF0A4259
	s_cselect_b64 s[34:35], s[36:37], s[60:61]                 // 0000000070F4: 85A23C24
	v_cvt_f32_i32_e32 v128, v128                               // 0000000070F8: 7F000B80
	v_cvt_f32_i32_e32 v129, v129                               // 0000000070FC: 7F020B81
	v_cvt_f32_i32_e32 v130, v130                               // 000000007100: 7F040B82
	v_cvt_f32_i32_e32 v131, v131                               // 000000007104: 7F060B83
	v_mul_f32_e32 v128, v14, v128                              // 000000007108: 0B01010E
	v_mul_f32_e32 v129, v14, v129                              // 00000000710C: 0B03030E
	v_mul_f32_e32 v130, v14, v130                              // 000000007110: 0B05050E
	v_mul_f32_e32 v131, v14, v131                              // 000000007114: 0B07070E
	v_mul_f32_dpp v128, v16, v128 row_newbcast:0 row_mask:0xf bank_mask:0xf// 000000007118: 0B0100FA FF015010
	v_mul_f32_dpp v129, v16, v129 row_newbcast:1 row_mask:0xf bank_mask:0xf// 000000007120: 0B0302FA FF015110
	v_mul_f32_dpp v130, v16, v130 row_newbcast:2 row_mask:0xf bank_mask:0xf// 000000007128: 0B0504FA FF015210
	v_mul_f32_dpp v131, v16, v131 row_newbcast:3 row_mask:0xf bank_mask:0xf// 000000007130: 0B0706FA FF015310
	v_cvt_f32_i32_e32 v132, v132                               // 000000007138: 7F080B84
	v_cvt_f32_i32_e32 v133, v133                               // 00000000713C: 7F0A0B85
	v_cvt_f32_i32_e32 v134, v134                               // 000000007140: 7F0C0B86
	v_cvt_f32_i32_e32 v135, v135                               // 000000007144: 7F0E0B87
	v_mul_f32_e32 v132, v15, v132                              // 000000007148: 0B09090F
	v_mul_f32_e32 v133, v15, v133                              // 00000000714C: 0B0B0B0F
	v_mul_f32_e32 v134, v15, v134                              // 000000007150: 0B0D0D0F
	v_mul_f32_e32 v135, v15, v135                              // 000000007154: 0B0F0F0F
	v_mul_f32_dpp v132, v16, v132 row_newbcast:0 row_mask:0xf bank_mask:0xf// 000000007158: 0B0908FA FF015010
	v_mul_f32_dpp v133, v16, v133 row_newbcast:1 row_mask:0xf bank_mask:0xf// 000000007160: 0B0B0AFA FF015110
	v_mul_f32_dpp v134, v16, v134 row_newbcast:2 row_mask:0xf bank_mask:0xf// 000000007168: 0B0D0CFA FF015210
	v_mul_f32_dpp v135, v16, v135 row_newbcast:3 row_mask:0xf bank_mask:0xf// 000000007170: 0B0F0EFA FF015310
	v_cvt_f32_i32_e32 v136, v136                               // 000000007178: 7F100B88
	v_cvt_f32_i32_e32 v137, v137                               // 00000000717C: 7F120B89
	v_cvt_f32_i32_e32 v138, v138                               // 000000007180: 7F140B8A
	v_cvt_f32_i32_e32 v139, v139                               // 000000007184: 7F160B8B
	v_mul_f32_e32 v136, v14, v136                              // 000000007188: 0B11110E
	v_mul_f32_e32 v137, v14, v137                              // 00000000718C: 0B13130E
	v_mul_f32_e32 v138, v14, v138                              // 000000007190: 0B15150E
	v_mul_f32_e32 v139, v14, v139                              // 000000007194: 0B17170E
	v_mul_f32_dpp v136, v16, v136 row_newbcast:4 row_mask:0xf bank_mask:0xf// 000000007198: 0B1110FA FF015410
	v_mul_f32_dpp v137, v16, v137 row_newbcast:5 row_mask:0xf bank_mask:0xf// 0000000071A0: 0B1312FA FF015510
	v_mul_f32_dpp v138, v16, v138 row_newbcast:6 row_mask:0xf bank_mask:0xf// 0000000071A8: 0B1514FA FF015610
	v_mul_f32_dpp v139, v16, v139 row_newbcast:7 row_mask:0xf bank_mask:0xf// 0000000071B0: 0B1716FA FF015710
	v_cvt_f32_i32_e32 v140, v140                               // 0000000071B8: 7F180B8C
	v_cvt_f32_i32_e32 v141, v141                               // 0000000071BC: 7F1A0B8D
	v_cvt_f32_i32_e32 v142, v142                               // 0000000071C0: 7F1C0B8E
	v_cvt_f32_i32_e32 v143, v143                               // 0000000071C4: 7F1E0B8F
	v_mul_f32_e32 v140, v15, v140                              // 0000000071C8: 0B19190F
	v_mul_f32_e32 v141, v15, v141                              // 0000000071CC: 0B1B1B0F
	v_mul_f32_e32 v142, v15, v142                              // 0000000071D0: 0B1D1D0F
	v_mul_f32_e32 v143, v15, v143                              // 0000000071D4: 0B1F1F0F
	v_mul_f32_dpp v140, v16, v140 row_newbcast:4 row_mask:0xf bank_mask:0xf// 0000000071D8: 0B1918FA FF015410
	v_mul_f32_dpp v141, v16, v141 row_newbcast:5 row_mask:0xf bank_mask:0xf// 0000000071E0: 0B1B1AFA FF015510
	v_mul_f32_dpp v142, v16, v142 row_newbcast:6 row_mask:0xf bank_mask:0xf// 0000000071E8: 0B1D1CFA FF015610
	v_mul_f32_dpp v143, v16, v143 row_newbcast:7 row_mask:0xf bank_mask:0xf// 0000000071F0: 0B1F1EFA FF015710
	v_cvt_f32_i32_e32 v144, v144                               // 0000000071F8: 7F200B90
	v_cvt_f32_i32_e32 v145, v145                               // 0000000071FC: 7F220B91
	v_cvt_f32_i32_e32 v146, v146                               // 000000007200: 7F240B92
	v_cvt_f32_i32_e32 v147, v147                               // 000000007204: 7F260B93
	v_mul_f32_e32 v144, v14, v144                              // 000000007208: 0B21210E
	v_mul_f32_e32 v145, v14, v145                              // 00000000720C: 0B23230E
	v_mul_f32_e32 v146, v14, v146                              // 000000007210: 0B25250E
	v_mul_f32_e32 v147, v14, v147                              // 000000007214: 0B27270E
	v_mul_f32_dpp v144, v16, v144 row_newbcast:8 row_mask:0xf bank_mask:0xf// 000000007218: 0B2120FA FF015810
	v_mul_f32_dpp v145, v16, v145 row_newbcast:9 row_mask:0xf bank_mask:0xf// 000000007220: 0B2322FA FF015910
	v_mul_f32_dpp v146, v16, v146 row_newbcast:10 row_mask:0xf bank_mask:0xf// 000000007228: 0B2524FA FF015A10
	v_mul_f32_dpp v147, v16, v147 row_newbcast:11 row_mask:0xf bank_mask:0xf// 000000007230: 0B2726FA FF015B10
	v_cvt_f32_i32_e32 v148, v148                               // 000000007238: 7F280B94
	v_cvt_f32_i32_e32 v149, v149                               // 00000000723C: 7F2A0B95
	v_cvt_f32_i32_e32 v150, v150                               // 000000007240: 7F2C0B96
	v_cvt_f32_i32_e32 v151, v151                               // 000000007244: 7F2E0B97
	v_mul_f32_e32 v148, v15, v148                              // 000000007248: 0B29290F
	v_mul_f32_e32 v149, v15, v149                              // 00000000724C: 0B2B2B0F
	v_mul_f32_e32 v150, v15, v150                              // 000000007250: 0B2D2D0F
	v_mul_f32_e32 v151, v15, v151                              // 000000007254: 0B2F2F0F
	v_mul_f32_dpp v148, v16, v148 row_newbcast:8 row_mask:0xf bank_mask:0xf// 000000007258: 0B2928FA FF015810
	v_mul_f32_dpp v149, v16, v149 row_newbcast:9 row_mask:0xf bank_mask:0xf// 000000007260: 0B2B2AFA FF015910
	v_mul_f32_dpp v150, v16, v150 row_newbcast:10 row_mask:0xf bank_mask:0xf// 000000007268: 0B2D2CFA FF015A10
	v_mul_f32_dpp v151, v16, v151 row_newbcast:11 row_mask:0xf bank_mask:0xf// 000000007270: 0B2F2EFA FF015B10
	v_cvt_f32_i32_e32 v152, v152                               // 000000007278: 7F300B98
	v_cvt_f32_i32_e32 v153, v153                               // 00000000727C: 7F320B99
	v_cvt_f32_i32_e32 v154, v154                               // 000000007280: 7F340B9A
	v_cvt_f32_i32_e32 v155, v155                               // 000000007284: 7F360B9B
	v_mul_f32_e32 v152, v14, v152                              // 000000007288: 0B31310E
	v_mul_f32_e32 v153, v14, v153                              // 00000000728C: 0B33330E
	v_mul_f32_e32 v154, v14, v154                              // 000000007290: 0B35350E
	v_mul_f32_e32 v155, v14, v155                              // 000000007294: 0B37370E
	v_mul_f32_dpp v152, v16, v152 row_newbcast:12 row_mask:0xf bank_mask:0xf// 000000007298: 0B3130FA FF015C10
	v_mul_f32_dpp v153, v16, v153 row_newbcast:13 row_mask:0xf bank_mask:0xf// 0000000072A0: 0B3332FA FF015D10
	v_mul_f32_dpp v154, v16, v154 row_newbcast:14 row_mask:0xf bank_mask:0xf// 0000000072A8: 0B3534FA FF015E10
	v_mul_f32_dpp v155, v16, v155 row_newbcast:15 row_mask:0xf bank_mask:0xf// 0000000072B0: 0B3736FA FF015F10
	v_cvt_f32_i32_e32 v156, v156                               // 0000000072B8: 7F380B9C
	v_cvt_f32_i32_e32 v157, v157                               // 0000000072BC: 7F3A0B9D
	v_cvt_f32_i32_e32 v158, v158                               // 0000000072C0: 7F3C0B9E
	v_cvt_f32_i32_e32 v159, v159                               // 0000000072C4: 7F3E0B9F
	v_mul_f32_e32 v156, v15, v156                              // 0000000072C8: 0B39390F
	v_mul_f32_e32 v157, v15, v157                              // 0000000072CC: 0B3B3B0F
	v_mul_f32_e32 v158, v15, v158                              // 0000000072D0: 0B3D3D0F
	v_mul_f32_e32 v159, v15, v159                              // 0000000072D4: 0B3F3F0F
	v_mul_f32_dpp v156, v16, v156 row_newbcast:12 row_mask:0xf bank_mask:0xf// 0000000072D8: 0B3938FA FF015C10
	v_mul_f32_dpp v157, v16, v157 row_newbcast:13 row_mask:0xf bank_mask:0xf// 0000000072E0: 0B3B3AFA FF015D10
	v_mul_f32_dpp v158, v16, v158 row_newbcast:14 row_mask:0xf bank_mask:0xf// 0000000072E8: 0B3D3CFA FF015E10
	v_mul_f32_dpp v159, v16, v159 row_newbcast:15 row_mask:0xf bank_mask:0xf// 0000000072F0: 0B3F3EFA FF015F10
	v_cvt_f32_i32_e32 v160, v160                               // 0000000072F8: 7F400BA0
	v_cvt_f32_i32_e32 v161, v161                               // 0000000072FC: 7F420BA1
	v_cvt_f32_i32_e32 v162, v162                               // 000000007300: 7F440BA2
	v_cvt_f32_i32_e32 v163, v163                               // 000000007304: 7F460BA3
	v_mul_f32_e32 v160, v14, v160                              // 000000007308: 0B41410E
	v_mul_f32_e32 v161, v14, v161                              // 00000000730C: 0B43430E
	v_mul_f32_e32 v162, v14, v162                              // 000000007310: 0B45450E
	v_mul_f32_e32 v163, v14, v163                              // 000000007314: 0B47470E
	v_mul_f32_dpp v160, v17, v160 row_newbcast:0 row_mask:0xf bank_mask:0xf// 000000007318: 0B4140FA FF015011
	v_mul_f32_dpp v161, v17, v161 row_newbcast:1 row_mask:0xf bank_mask:0xf// 000000007320: 0B4342FA FF015111
	v_mul_f32_dpp v162, v17, v162 row_newbcast:2 row_mask:0xf bank_mask:0xf// 000000007328: 0B4544FA FF015211
	v_mul_f32_dpp v163, v17, v163 row_newbcast:3 row_mask:0xf bank_mask:0xf// 000000007330: 0B4746FA FF015311
	v_cvt_f32_i32_e32 v164, v164                               // 000000007338: 7F480BA4
	v_cvt_f32_i32_e32 v165, v165                               // 00000000733C: 7F4A0BA5
	v_cvt_f32_i32_e32 v166, v166                               // 000000007340: 7F4C0BA6
	v_cvt_f32_i32_e32 v167, v167                               // 000000007344: 7F4E0BA7
	v_mul_f32_e32 v164, v15, v164                              // 000000007348: 0B49490F
	v_mul_f32_e32 v165, v15, v165                              // 00000000734C: 0B4B4B0F
	v_mul_f32_e32 v166, v15, v166                              // 000000007350: 0B4D4D0F
	v_mul_f32_e32 v167, v15, v167                              // 000000007354: 0B4F4F0F
	v_mul_f32_dpp v164, v17, v164 row_newbcast:0 row_mask:0xf bank_mask:0xf// 000000007358: 0B4948FA FF015011
	v_mul_f32_dpp v165, v17, v165 row_newbcast:1 row_mask:0xf bank_mask:0xf// 000000007360: 0B4B4AFA FF015111
	v_mul_f32_dpp v166, v17, v166 row_newbcast:2 row_mask:0xf bank_mask:0xf// 000000007368: 0B4D4CFA FF015211
	v_mul_f32_dpp v167, v17, v167 row_newbcast:3 row_mask:0xf bank_mask:0xf// 000000007370: 0B4F4EFA FF015311
	s_waitcnt vmcnt(16)                                        // 000000007378: BF8C4F70
	buffer_load_dwordx4 a[0:3], v39, s[12:15], 0 offen         // 00000000737C: E05C1000 80830027
	v_mul_f32_e32 v48, v128, v128                              // 000000007384: 0A610180
	v_mul_f32_e32 v49, v129, v129                              // 000000007388: 0A630381
	v_mul_f32_e32 v50, v130, v130                              // 00000000738C: 0A650582
	v_mul_f32_e32 v51, v131, v131                              // 000000007390: 0A670783
	v_fma_f32 v48, v48, s77, v1                                // 000000007394: D1CB0030 04049B30
	v_fma_f32 v49, v49, s77, v1                                // 00000000739C: D1CB0031 04049B31
	v_fma_f32 v50, v50, s77, v1                                // 0000000073A4: D1CB0032 04049B32
	v_fma_f32 v51, v51, s77, v1                                // 0000000073AC: D1CB0033 04049B33
	v_mul_f32_e32 v48, v48, v128                               // 0000000073B4: 0A610130
	v_mul_f32_e32 v49, v49, v129                               // 0000000073B8: 0A630331
	v_mul_f32_e32 v50, v50, v130                               // 0000000073BC: 0A650532
	v_mul_f32_e32 v51, v51, v131                               // 0000000073C0: 0A670733
	v_mul_f32_e64 v48, v48, s6                                 // 0000000073C4: D1050030 00000D30
	v_mul_f32_e64 v49, v49, s6                                 // 0000000073CC: D1050031 00000D31
	v_mul_f32_e64 v50, v50, s6                                 // 0000000073D4: D1050032 00000D32
	v_mul_f32_e64 v51, v51, s6                                 // 0000000073DC: D1050033 00000D33
	v_exp_f32_e32 v48, v48                                     // 0000000073E4: 7E604130
	v_exp_f32_e32 v49, v49                                     // 0000000073E8: 7E624131
	v_exp_f32_e32 v50, v50                                     // 0000000073EC: 7E644132
	v_exp_f32_e32 v51, v51                                     // 0000000073F0: 7E664133
	buffer_load_dwordx4 a[4:7], v40, s[12:15], 0 offen         // 0000000073F4: E05C1000 80830428
	v_add_f32_e64 v48, v48, 1.0                                // 0000000073FC: D1010030 0001E530
	v_add_f32_e64 v49, v49, 1.0                                // 000000007404: D1010031 0001E531
	v_add_f32_e64 v50, v50, 1.0                                // 00000000740C: D1010032 0001E532
	v_add_f32_e64 v51, v51, 1.0                                // 000000007414: D1010033 0001E533
	v_rcp_f32_e32 v48, v48                                     // 00000000741C: 7E604530
	v_rcp_f32_e32 v49, v49                                     // 000000007420: 7E624531
	v_rcp_f32_e32 v50, v50                                     // 000000007424: 7E644532
	v_rcp_f32_e32 v51, v51                                     // 000000007428: 7E664533
	v_mul_f32_e32 v128, v128, v48                              // 00000000742C: 0B006180
	v_mul_f32_e32 v129, v129, v49                              // 000000007430: 0B026381
	v_mul_f32_e32 v130, v130, v50                              // 000000007434: 0B046582
	v_mul_f32_e32 v131, v131, v51                              // 000000007438: 0B066783
	buffer_load_dwordx4 a[8:11], v41, s[12:15], 0 offen        // 00000000743C: E05C1000 80830829
	v_mul_f32_e32 v48, v132, v132                              // 000000007444: 0A610984
	v_mul_f32_e32 v49, v133, v133                              // 000000007448: 0A630B85
	v_mul_f32_e32 v50, v134, v134                              // 00000000744C: 0A650D86
	v_mul_f32_e32 v51, v135, v135                              // 000000007450: 0A670F87
	v_fma_f32 v48, v48, s77, v1                                // 000000007454: D1CB0030 04049B30
	v_fma_f32 v49, v49, s77, v1                                // 00000000745C: D1CB0031 04049B31
	v_fma_f32 v50, v50, s77, v1                                // 000000007464: D1CB0032 04049B32
	v_fma_f32 v51, v51, s77, v1                                // 00000000746C: D1CB0033 04049B33
	v_mul_f32_e32 v48, v48, v132                               // 000000007474: 0A610930
	v_mul_f32_e32 v49, v49, v133                               // 000000007478: 0A630B31
	v_mul_f32_e32 v50, v50, v134                               // 00000000747C: 0A650D32
	v_mul_f32_e32 v51, v51, v135                               // 000000007480: 0A670F33
	v_mul_f32_e64 v48, v48, s6                                 // 000000007484: D1050030 00000D30
	v_mul_f32_e64 v49, v49, s6                                 // 00000000748C: D1050031 00000D31
	v_mul_f32_e64 v50, v50, s6                                 // 000000007494: D1050032 00000D32
	v_mul_f32_e64 v51, v51, s6                                 // 00000000749C: D1050033 00000D33
	v_exp_f32_e32 v48, v48                                     // 0000000074A4: 7E604130
	v_exp_f32_e32 v49, v49                                     // 0000000074A8: 7E624131
	v_exp_f32_e32 v50, v50                                     // 0000000074AC: 7E644132
	v_exp_f32_e32 v51, v51                                     // 0000000074B0: 7E664133
	buffer_load_dwordx4 a[12:15], v42, s[12:15], 0 offen       // 0000000074B4: E05C1000 80830C2A
	s_add_u32 s12, s78, s12                                    // 0000000074BC: 800C0C4E
	s_addc_u32 s13, 0, s13                                     // 0000000074C0: 820D0D80
	v_add_f32_e64 v48, v48, 1.0                                // 0000000074C4: D1010030 0001E530
	v_add_f32_e64 v49, v49, 1.0                                // 0000000074CC: D1010031 0001E531
	v_add_f32_e64 v50, v50, 1.0                                // 0000000074D4: D1010032 0001E532
	v_add_f32_e64 v51, v51, 1.0                                // 0000000074DC: D1010033 0001E533
	v_rcp_f32_e32 v48, v48                                     // 0000000074E4: 7E604530
	v_rcp_f32_e32 v49, v49                                     // 0000000074E8: 7E624531
	v_rcp_f32_e32 v50, v50                                     // 0000000074EC: 7E644532
	v_rcp_f32_e32 v51, v51                                     // 0000000074F0: 7E664533
	v_mul_f32_e32 v132, v132, v48                              // 0000000074F4: 0B086184
	v_mul_f32_e32 v133, v133, v49                              // 0000000074F8: 0B0A6385
	v_mul_f32_e32 v134, v134, v50                              // 0000000074FC: 0B0C6586
	v_mul_f32_e32 v135, v135, v51                              // 000000007500: 0B0E6787
	s_waitcnt vmcnt(16)                                        // 000000007504: BF8C4F70
	buffer_load_dwordx4 a[16:19], v39, s[12:15], 0 offen       // 000000007508: E05C1000 80831027
	v_mul_f32_e32 v48, v136, v136                              // 000000007510: 0A611188
	v_mul_f32_e32 v49, v137, v137                              // 000000007514: 0A631389
	v_mul_f32_e32 v50, v138, v138                              // 000000007518: 0A65158A
	v_mul_f32_e32 v51, v139, v139                              // 00000000751C: 0A67178B
	v_fma_f32 v48, v48, s77, v1                                // 000000007520: D1CB0030 04049B30
	v_fma_f32 v49, v49, s77, v1                                // 000000007528: D1CB0031 04049B31
	v_fma_f32 v50, v50, s77, v1                                // 000000007530: D1CB0032 04049B32
	v_fma_f32 v51, v51, s77, v1                                // 000000007538: D1CB0033 04049B33
	v_mul_f32_e32 v48, v48, v136                               // 000000007540: 0A611130
	v_mul_f32_e32 v49, v49, v137                               // 000000007544: 0A631331
	v_mul_f32_e32 v50, v50, v138                               // 000000007548: 0A651532
	v_mul_f32_e32 v51, v51, v139                               // 00000000754C: 0A671733
	v_mul_f32_e64 v48, v48, s6                                 // 000000007550: D1050030 00000D30
	v_mul_f32_e64 v49, v49, s6                                 // 000000007558: D1050031 00000D31
	v_mul_f32_e64 v50, v50, s6                                 // 000000007560: D1050032 00000D32
	v_mul_f32_e64 v51, v51, s6                                 // 000000007568: D1050033 00000D33
	v_exp_f32_e32 v48, v48                                     // 000000007570: 7E604130
	v_exp_f32_e32 v49, v49                                     // 000000007574: 7E624131
	v_exp_f32_e32 v50, v50                                     // 000000007578: 7E644132
	v_exp_f32_e32 v51, v51                                     // 00000000757C: 7E664133
	buffer_load_dwordx4 a[20:23], v40, s[12:15], 0 offen       // 000000007580: E05C1000 80831428
	v_add_f32_e64 v48, v48, 1.0                                // 000000007588: D1010030 0001E530
	v_add_f32_e64 v49, v49, 1.0                                // 000000007590: D1010031 0001E531
	v_add_f32_e64 v50, v50, 1.0                                // 000000007598: D1010032 0001E532
	v_add_f32_e64 v51, v51, 1.0                                // 0000000075A0: D1010033 0001E533
	v_rcp_f32_e32 v48, v48                                     // 0000000075A8: 7E604530
	v_rcp_f32_e32 v49, v49                                     // 0000000075AC: 7E624531
	v_rcp_f32_e32 v50, v50                                     // 0000000075B0: 7E644532
	v_rcp_f32_e32 v51, v51                                     // 0000000075B4: 7E664533
	v_mul_f32_e32 v136, v136, v48                              // 0000000075B8: 0B106188
	v_mul_f32_e32 v137, v137, v49                              // 0000000075BC: 0B126389
	v_mul_f32_e32 v138, v138, v50                              // 0000000075C0: 0B14658A
	v_mul_f32_e32 v139, v139, v51                              // 0000000075C4: 0B16678B
	buffer_load_dwordx4 a[24:27], v41, s[12:15], 0 offen       // 0000000075C8: E05C1000 80831829
	v_mul_f32_e32 v48, v140, v140                              // 0000000075D0: 0A61198C
	v_mul_f32_e32 v49, v141, v141                              // 0000000075D4: 0A631B8D
	v_mul_f32_e32 v50, v142, v142                              // 0000000075D8: 0A651D8E
	v_mul_f32_e32 v51, v143, v143                              // 0000000075DC: 0A671F8F
	v_fma_f32 v48, v48, s77, v1                                // 0000000075E0: D1CB0030 04049B30
	v_fma_f32 v49, v49, s77, v1                                // 0000000075E8: D1CB0031 04049B31
	v_fma_f32 v50, v50, s77, v1                                // 0000000075F0: D1CB0032 04049B32
	v_fma_f32 v51, v51, s77, v1                                // 0000000075F8: D1CB0033 04049B33
	v_mul_f32_e32 v48, v48, v140                               // 000000007600: 0A611930
	v_mul_f32_e32 v49, v49, v141                               // 000000007604: 0A631B31
	v_mul_f32_e32 v50, v50, v142                               // 000000007608: 0A651D32
	v_mul_f32_e32 v51, v51, v143                               // 00000000760C: 0A671F33
	v_mul_f32_e64 v48, v48, s6                                 // 000000007610: D1050030 00000D30
	v_mul_f32_e64 v49, v49, s6                                 // 000000007618: D1050031 00000D31
	v_mul_f32_e64 v50, v50, s6                                 // 000000007620: D1050032 00000D32
	v_mul_f32_e64 v51, v51, s6                                 // 000000007628: D1050033 00000D33
	v_exp_f32_e32 v48, v48                                     // 000000007630: 7E604130
	v_exp_f32_e32 v49, v49                                     // 000000007634: 7E624131
	v_exp_f32_e32 v50, v50                                     // 000000007638: 7E644132
	v_exp_f32_e32 v51, v51                                     // 00000000763C: 7E664133
	buffer_load_dwordx4 a[28:31], v42, s[12:15], 0 offen       // 000000007640: E05C1000 80831C2A
	s_add_u32 s12, s78, s12                                    // 000000007648: 800C0C4E
	s_addc_u32 s13, 0, s13                                     // 00000000764C: 820D0D80
	v_add_f32_e64 v48, v48, 1.0                                // 000000007650: D1010030 0001E530
	v_add_f32_e64 v49, v49, 1.0                                // 000000007658: D1010031 0001E531
	v_add_f32_e64 v50, v50, 1.0                                // 000000007660: D1010032 0001E532
	v_add_f32_e64 v51, v51, 1.0                                // 000000007668: D1010033 0001E533
	v_rcp_f32_e32 v48, v48                                     // 000000007670: 7E604530
	v_rcp_f32_e32 v49, v49                                     // 000000007674: 7E624531
	v_rcp_f32_e32 v50, v50                                     // 000000007678: 7E644532
	v_rcp_f32_e32 v51, v51                                     // 00000000767C: 7E664533
	v_mul_f32_e32 v140, v140, v48                              // 000000007680: 0B18618C
	v_mul_f32_e32 v141, v141, v49                              // 000000007684: 0B1A638D
	v_mul_f32_e32 v142, v142, v50                              // 000000007688: 0B1C658E
	v_mul_f32_e32 v143, v143, v51                              // 00000000768C: 0B1E678F
	s_waitcnt vmcnt(16)                                        // 000000007690: BF8C4F70
	buffer_load_dwordx4 a[32:35], v39, s[12:15], 0 offen       // 000000007694: E05C1000 80832027
	v_mul_f32_e32 v48, v144, v144                              // 00000000769C: 0A612190
	v_mul_f32_e32 v49, v145, v145                              // 0000000076A0: 0A632391
	v_mul_f32_e32 v50, v146, v146                              // 0000000076A4: 0A652592
	v_mul_f32_e32 v51, v147, v147                              // 0000000076A8: 0A672793
	v_fma_f32 v48, v48, s77, v1                                // 0000000076AC: D1CB0030 04049B30
	v_fma_f32 v49, v49, s77, v1                                // 0000000076B4: D1CB0031 04049B31
	v_fma_f32 v50, v50, s77, v1                                // 0000000076BC: D1CB0032 04049B32
	v_fma_f32 v51, v51, s77, v1                                // 0000000076C4: D1CB0033 04049B33
	v_mul_f32_e32 v48, v48, v144                               // 0000000076CC: 0A612130
	v_mul_f32_e32 v49, v49, v145                               // 0000000076D0: 0A632331
	v_mul_f32_e32 v50, v50, v146                               // 0000000076D4: 0A652532
	v_mul_f32_e32 v51, v51, v147                               // 0000000076D8: 0A672733
	v_mul_f32_e64 v48, v48, s6                                 // 0000000076DC: D1050030 00000D30
	v_mul_f32_e64 v49, v49, s6                                 // 0000000076E4: D1050031 00000D31
	v_mul_f32_e64 v50, v50, s6                                 // 0000000076EC: D1050032 00000D32
	v_mul_f32_e64 v51, v51, s6                                 // 0000000076F4: D1050033 00000D33
	v_exp_f32_e32 v48, v48                                     // 0000000076FC: 7E604130
	v_exp_f32_e32 v49, v49                                     // 000000007700: 7E624131
	v_exp_f32_e32 v50, v50                                     // 000000007704: 7E644132
	v_exp_f32_e32 v51, v51                                     // 000000007708: 7E664133
	buffer_load_dwordx4 a[36:39], v40, s[12:15], 0 offen       // 00000000770C: E05C1000 80832428
	v_add_f32_e64 v48, v48, 1.0                                // 000000007714: D1010030 0001E530
	v_add_f32_e64 v49, v49, 1.0                                // 00000000771C: D1010031 0001E531
	v_add_f32_e64 v50, v50, 1.0                                // 000000007724: D1010032 0001E532
	v_add_f32_e64 v51, v51, 1.0                                // 00000000772C: D1010033 0001E533
	v_rcp_f32_e32 v48, v48                                     // 000000007734: 7E604530
	v_rcp_f32_e32 v49, v49                                     // 000000007738: 7E624531
	v_rcp_f32_e32 v50, v50                                     // 00000000773C: 7E644532
	v_rcp_f32_e32 v51, v51                                     // 000000007740: 7E664533
	v_mul_f32_e32 v144, v144, v48                              // 000000007744: 0B206190
	v_mul_f32_e32 v145, v145, v49                              // 000000007748: 0B226391
	v_mul_f32_e32 v146, v146, v50                              // 00000000774C: 0B246592
	v_mul_f32_e32 v147, v147, v51                              // 000000007750: 0B266793
	buffer_load_dwordx4 a[40:43], v41, s[12:15], 0 offen       // 000000007754: E05C1000 80832829
	v_mul_f32_e32 v48, v148, v148                              // 00000000775C: 0A612994
	v_mul_f32_e32 v49, v149, v149                              // 000000007760: 0A632B95
	v_mul_f32_e32 v50, v150, v150                              // 000000007764: 0A652D96
	v_mul_f32_e32 v51, v151, v151                              // 000000007768: 0A672F97
	v_fma_f32 v48, v48, s77, v1                                // 00000000776C: D1CB0030 04049B30
	v_fma_f32 v49, v49, s77, v1                                // 000000007774: D1CB0031 04049B31
	v_fma_f32 v50, v50, s77, v1                                // 00000000777C: D1CB0032 04049B32
	v_fma_f32 v51, v51, s77, v1                                // 000000007784: D1CB0033 04049B33
	v_mul_f32_e32 v48, v48, v148                               // 00000000778C: 0A612930
	v_mul_f32_e32 v49, v49, v149                               // 000000007790: 0A632B31
	v_mul_f32_e32 v50, v50, v150                               // 000000007794: 0A652D32
	v_mul_f32_e32 v51, v51, v151                               // 000000007798: 0A672F33
	v_mul_f32_e64 v48, v48, s6                                 // 00000000779C: D1050030 00000D30
	v_mul_f32_e64 v49, v49, s6                                 // 0000000077A4: D1050031 00000D31
	v_mul_f32_e64 v50, v50, s6                                 // 0000000077AC: D1050032 00000D32
	v_mul_f32_e64 v51, v51, s6                                 // 0000000077B4: D1050033 00000D33
	v_exp_f32_e32 v48, v48                                     // 0000000077BC: 7E604130
	v_exp_f32_e32 v49, v49                                     // 0000000077C0: 7E624131
	v_exp_f32_e32 v50, v50                                     // 0000000077C4: 7E644132
	v_exp_f32_e32 v51, v51                                     // 0000000077C8: 7E664133
	buffer_load_dwordx4 a[44:47], v42, s[12:15], 0 offen       // 0000000077CC: E05C1000 80832C2A
	s_add_u32 s12, s78, s12                                    // 0000000077D4: 800C0C4E
	s_addc_u32 s13, 0, s13                                     // 0000000077D8: 820D0D80
	v_add_f32_e64 v48, v48, 1.0                                // 0000000077DC: D1010030 0001E530
	v_add_f32_e64 v49, v49, 1.0                                // 0000000077E4: D1010031 0001E531
	v_add_f32_e64 v50, v50, 1.0                                // 0000000077EC: D1010032 0001E532
	v_add_f32_e64 v51, v51, 1.0                                // 0000000077F4: D1010033 0001E533
	v_rcp_f32_e32 v48, v48                                     // 0000000077FC: 7E604530
	v_rcp_f32_e32 v49, v49                                     // 000000007800: 7E624531
	v_rcp_f32_e32 v50, v50                                     // 000000007804: 7E644532
	v_rcp_f32_e32 v51, v51                                     // 000000007808: 7E664533
	v_mul_f32_e32 v148, v148, v48                              // 00000000780C: 0B286194
	v_mul_f32_e32 v149, v149, v49                              // 000000007810: 0B2A6395
	v_mul_f32_e32 v150, v150, v50                              // 000000007814: 0B2C6596
	v_mul_f32_e32 v151, v151, v51                              // 000000007818: 0B2E6797
	s_waitcnt vmcnt(16)                                        // 00000000781C: BF8C4F70
	buffer_load_dwordx4 a[48:51], v39, s[12:15], 0 offen       // 000000007820: E05C1000 80833027
	v_mul_f32_e32 v48, v152, v152                              // 000000007828: 0A613198
	v_mul_f32_e32 v49, v153, v153                              // 00000000782C: 0A633399
	v_mul_f32_e32 v50, v154, v154                              // 000000007830: 0A65359A
	v_mul_f32_e32 v51, v155, v155                              // 000000007834: 0A67379B
	v_fma_f32 v48, v48, s77, v1                                // 000000007838: D1CB0030 04049B30
	v_fma_f32 v49, v49, s77, v1                                // 000000007840: D1CB0031 04049B31
	v_fma_f32 v50, v50, s77, v1                                // 000000007848: D1CB0032 04049B32
	v_fma_f32 v51, v51, s77, v1                                // 000000007850: D1CB0033 04049B33
	v_mul_f32_e32 v48, v48, v152                               // 000000007858: 0A613130
	v_mul_f32_e32 v49, v49, v153                               // 00000000785C: 0A633331
	v_mul_f32_e32 v50, v50, v154                               // 000000007860: 0A653532
	v_mul_f32_e32 v51, v51, v155                               // 000000007864: 0A673733
	v_mul_f32_e64 v48, v48, s6                                 // 000000007868: D1050030 00000D30
	v_mul_f32_e64 v49, v49, s6                                 // 000000007870: D1050031 00000D31
	v_mul_f32_e64 v50, v50, s6                                 // 000000007878: D1050032 00000D32
	v_mul_f32_e64 v51, v51, s6                                 // 000000007880: D1050033 00000D33
	v_exp_f32_e32 v48, v48                                     // 000000007888: 7E604130
	v_exp_f32_e32 v49, v49                                     // 00000000788C: 7E624131
	v_exp_f32_e32 v50, v50                                     // 000000007890: 7E644132
	v_exp_f32_e32 v51, v51                                     // 000000007894: 7E664133
	buffer_load_dwordx4 a[52:55], v40, s[12:15], 0 offen       // 000000007898: E05C1000 80833428
	v_add_f32_e64 v48, v48, 1.0                                // 0000000078A0: D1010030 0001E530
	v_add_f32_e64 v49, v49, 1.0                                // 0000000078A8: D1010031 0001E531
	v_add_f32_e64 v50, v50, 1.0                                // 0000000078B0: D1010032 0001E532
	v_add_f32_e64 v51, v51, 1.0                                // 0000000078B8: D1010033 0001E533
	v_rcp_f32_e32 v48, v48                                     // 0000000078C0: 7E604530
	v_rcp_f32_e32 v49, v49                                     // 0000000078C4: 7E624531
	v_rcp_f32_e32 v50, v50                                     // 0000000078C8: 7E644532
	v_rcp_f32_e32 v51, v51                                     // 0000000078CC: 7E664533
	v_mul_f32_e32 v152, v152, v48                              // 0000000078D0: 0B306198
	v_mul_f32_e32 v153, v153, v49                              // 0000000078D4: 0B326399
	v_mul_f32_e32 v154, v154, v50                              // 0000000078D8: 0B34659A
	v_mul_f32_e32 v155, v155, v51                              // 0000000078DC: 0B36679B
	buffer_load_dwordx4 a[56:59], v41, s[12:15], 0 offen       // 0000000078E0: E05C1000 80833829
	v_mul_f32_e32 v48, v156, v156                              // 0000000078E8: 0A61399C
	v_mul_f32_e32 v49, v157, v157                              // 0000000078EC: 0A633B9D
	v_mul_f32_e32 v50, v158, v158                              // 0000000078F0: 0A653D9E
	v_mul_f32_e32 v51, v159, v159                              // 0000000078F4: 0A673F9F
	v_fma_f32 v48, v48, s77, v1                                // 0000000078F8: D1CB0030 04049B30
	v_fma_f32 v49, v49, s77, v1                                // 000000007900: D1CB0031 04049B31
	v_fma_f32 v50, v50, s77, v1                                // 000000007908: D1CB0032 04049B32
	v_fma_f32 v51, v51, s77, v1                                // 000000007910: D1CB0033 04049B33
	v_mul_f32_e32 v48, v48, v156                               // 000000007918: 0A613930
	v_mul_f32_e32 v49, v49, v157                               // 00000000791C: 0A633B31
	v_mul_f32_e32 v50, v50, v158                               // 000000007920: 0A653D32
	v_mul_f32_e32 v51, v51, v159                               // 000000007924: 0A673F33
	v_mul_f32_e64 v48, v48, s6                                 // 000000007928: D1050030 00000D30
	v_mul_f32_e64 v49, v49, s6                                 // 000000007930: D1050031 00000D31
	v_mul_f32_e64 v50, v50, s6                                 // 000000007938: D1050032 00000D32
	v_mul_f32_e64 v51, v51, s6                                 // 000000007940: D1050033 00000D33
	v_exp_f32_e32 v48, v48                                     // 000000007948: 7E604130
	v_exp_f32_e32 v49, v49                                     // 00000000794C: 7E624131
	v_exp_f32_e32 v50, v50                                     // 000000007950: 7E644132
	v_exp_f32_e32 v51, v51                                     // 000000007954: 7E664133
	buffer_load_dwordx4 a[60:63], v42, s[12:15], 0 offen       // 000000007958: E05C1000 80833C2A
	s_add_u32 s12, s78, s12                                    // 000000007960: 800C0C4E
	s_addc_u32 s13, 0, s13                                     // 000000007964: 820D0D80
	v_add_f32_e64 v48, v48, 1.0                                // 000000007968: D1010030 0001E530
	v_add_f32_e64 v49, v49, 1.0                                // 000000007970: D1010031 0001E531
	v_add_f32_e64 v50, v50, 1.0                                // 000000007978: D1010032 0001E532
	v_add_f32_e64 v51, v51, 1.0                                // 000000007980: D1010033 0001E533
	v_rcp_f32_e32 v48, v48                                     // 000000007988: 7E604530
	v_rcp_f32_e32 v49, v49                                     // 00000000798C: 7E624531
	v_rcp_f32_e32 v50, v50                                     // 000000007990: 7E644532
	v_rcp_f32_e32 v51, v51                                     // 000000007994: 7E664533
	v_mul_f32_e32 v156, v156, v48                              // 000000007998: 0B38619C
	v_mul_f32_e32 v157, v157, v49                              // 00000000799C: 0B3A639D
	v_mul_f32_e32 v158, v158, v50                              // 0000000079A0: 0B3C659E
	v_mul_f32_e32 v159, v159, v51                              // 0000000079A4: 0B3E679F
	s_waitcnt vmcnt(16)                                        // 0000000079A8: BF8C4F70
	buffer_load_dwordx4 a[64:67], v39, s[12:15], 0 offen       // 0000000079AC: E05C1000 80834027
	v_mul_f32_e32 v48, v160, v160                              // 0000000079B4: 0A6141A0
	v_mul_f32_e32 v49, v161, v161                              // 0000000079B8: 0A6343A1
	v_mul_f32_e32 v50, v162, v162                              // 0000000079BC: 0A6545A2
	v_mul_f32_e32 v51, v163, v163                              // 0000000079C0: 0A6747A3
	v_fma_f32 v48, v48, s77, v1                                // 0000000079C4: D1CB0030 04049B30
	v_fma_f32 v49, v49, s77, v1                                // 0000000079CC: D1CB0031 04049B31
	v_fma_f32 v50, v50, s77, v1                                // 0000000079D4: D1CB0032 04049B32
	v_fma_f32 v51, v51, s77, v1                                // 0000000079DC: D1CB0033 04049B33
	v_mul_f32_e32 v48, v48, v160                               // 0000000079E4: 0A614130
	v_mul_f32_e32 v49, v49, v161                               // 0000000079E8: 0A634331
	v_mul_f32_e32 v50, v50, v162                               // 0000000079EC: 0A654532
	v_mul_f32_e32 v51, v51, v163                               // 0000000079F0: 0A674733
	v_mul_f32_e64 v48, v48, s6                                 // 0000000079F4: D1050030 00000D30
	v_mul_f32_e64 v49, v49, s6                                 // 0000000079FC: D1050031 00000D31
	v_mul_f32_e64 v50, v50, s6                                 // 000000007A04: D1050032 00000D32
	v_mul_f32_e64 v51, v51, s6                                 // 000000007A0C: D1050033 00000D33
	v_exp_f32_e32 v48, v48                                     // 000000007A14: 7E604130
	v_exp_f32_e32 v49, v49                                     // 000000007A18: 7E624131
	v_exp_f32_e32 v50, v50                                     // 000000007A1C: 7E644132
	v_exp_f32_e32 v51, v51                                     // 000000007A20: 7E664133
	buffer_load_dwordx4 a[68:71], v40, s[12:15], 0 offen       // 000000007A24: E05C1000 80834428
	v_add_f32_e64 v48, v48, 1.0                                // 000000007A2C: D1010030 0001E530
	v_add_f32_e64 v49, v49, 1.0                                // 000000007A34: D1010031 0001E531
	v_add_f32_e64 v50, v50, 1.0                                // 000000007A3C: D1010032 0001E532
	v_add_f32_e64 v51, v51, 1.0                                // 000000007A44: D1010033 0001E533
	v_rcp_f32_e32 v48, v48                                     // 000000007A4C: 7E604530
	v_rcp_f32_e32 v49, v49                                     // 000000007A50: 7E624531
	v_rcp_f32_e32 v50, v50                                     // 000000007A54: 7E644532
	v_rcp_f32_e32 v51, v51                                     // 000000007A58: 7E664533
	v_mul_f32_e32 v160, v160, v48                              // 000000007A5C: 0B4061A0
	v_mul_f32_e32 v161, v161, v49                              // 000000007A60: 0B4263A1
	v_mul_f32_e32 v162, v162, v50                              // 000000007A64: 0B4465A2
	v_mul_f32_e32 v163, v163, v51                              // 000000007A68: 0B4667A3
	buffer_load_dwordx4 a[72:75], v41, s[12:15], 0 offen       // 000000007A6C: E05C1000 80834829
	v_mul_f32_e32 v48, v164, v164                              // 000000007A74: 0A6149A4
	v_mul_f32_e32 v49, v165, v165                              // 000000007A78: 0A634BA5
	v_mul_f32_e32 v50, v166, v166                              // 000000007A7C: 0A654DA6
	v_mul_f32_e32 v51, v167, v167                              // 000000007A80: 0A674FA7
	v_fma_f32 v48, v48, s77, v1                                // 000000007A84: D1CB0030 04049B30
	v_fma_f32 v49, v49, s77, v1                                // 000000007A8C: D1CB0031 04049B31
	v_fma_f32 v50, v50, s77, v1                                // 000000007A94: D1CB0032 04049B32
	v_fma_f32 v51, v51, s77, v1                                // 000000007A9C: D1CB0033 04049B33
	v_mul_f32_e32 v48, v48, v164                               // 000000007AA4: 0A614930
	v_mul_f32_e32 v49, v49, v165                               // 000000007AA8: 0A634B31
	v_mul_f32_e32 v50, v50, v166                               // 000000007AAC: 0A654D32
	v_mul_f32_e32 v51, v51, v167                               // 000000007AB0: 0A674F33
	v_mul_f32_e64 v48, v48, s6                                 // 000000007AB4: D1050030 00000D30
	v_mul_f32_e64 v49, v49, s6                                 // 000000007ABC: D1050031 00000D31
	v_mul_f32_e64 v50, v50, s6                                 // 000000007AC4: D1050032 00000D32
	v_mul_f32_e64 v51, v51, s6                                 // 000000007ACC: D1050033 00000D33
	v_exp_f32_e32 v48, v48                                     // 000000007AD4: 7E604130
	v_exp_f32_e32 v49, v49                                     // 000000007AD8: 7E624131
	v_exp_f32_e32 v50, v50                                     // 000000007ADC: 7E644132
	v_exp_f32_e32 v51, v51                                     // 000000007AE0: 7E664133
	buffer_load_dwordx4 a[76:79], v42, s[12:15], 0 offen       // 000000007AE4: E05C1000 80834C2A
	v_add_f32_e64 v48, v48, 1.0                                // 000000007AEC: D1010030 0001E530
	v_add_f32_e64 v49, v49, 1.0                                // 000000007AF4: D1010031 0001E531
	v_add_f32_e64 v50, v50, 1.0                                // 000000007AFC: D1010032 0001E532
	v_add_f32_e64 v51, v51, 1.0                                // 000000007B04: D1010033 0001E533
	v_rcp_f32_e32 v48, v48                                     // 000000007B0C: 7E604530
	v_rcp_f32_e32 v49, v49                                     // 000000007B10: 7E624531
	v_rcp_f32_e32 v50, v50                                     // 000000007B14: 7E644532
	v_rcp_f32_e32 v51, v51                                     // 000000007B18: 7E664533
	v_mul_f32_e32 v164, v164, v48                              // 000000007B1C: 0B4861A4
	v_mul_f32_e32 v165, v165, v49                              // 000000007B20: 0B4A63A5
	v_mul_f32_e32 v166, v166, v50                              // 000000007B24: 0B4C65A6
	v_mul_f32_e32 v167, v167, v51                              // 000000007B28: 0B4E67A7
	v_mul_f32_dpp v128, v18, v128 row_newbcast:0 row_mask:0xf bank_mask:0xf// 000000007B2C: 0B0100FA FF015012
	v_mul_f32_dpp v129, v18, v129 row_newbcast:1 row_mask:0xf bank_mask:0xf// 000000007B34: 0B0302FA FF015112
	v_mul_f32_dpp v130, v18, v130 row_newbcast:2 row_mask:0xf bank_mask:0xf// 000000007B3C: 0B0504FA FF015212
	v_mul_f32_dpp v131, v18, v131 row_newbcast:3 row_mask:0xf bank_mask:0xf// 000000007B44: 0B0706FA FF015312
	v_mul_f32_dpp v132, v18, v132 row_newbcast:0 row_mask:0xf bank_mask:0xf// 000000007B4C: 0B0908FA FF015012
	v_mul_f32_dpp v133, v18, v133 row_newbcast:1 row_mask:0xf bank_mask:0xf// 000000007B54: 0B0B0AFA FF015112
	v_mul_f32_dpp v134, v18, v134 row_newbcast:2 row_mask:0xf bank_mask:0xf// 000000007B5C: 0B0D0CFA FF015212
	v_mul_f32_dpp v135, v18, v135 row_newbcast:3 row_mask:0xf bank_mask:0xf// 000000007B64: 0B0F0EFA FF015312
	v_mul_f32_dpp v136, v18, v136 row_newbcast:4 row_mask:0xf bank_mask:0xf// 000000007B6C: 0B1110FA FF015412
	v_mul_f32_dpp v137, v18, v137 row_newbcast:5 row_mask:0xf bank_mask:0xf// 000000007B74: 0B1312FA FF015512
	v_mul_f32_dpp v138, v18, v138 row_newbcast:6 row_mask:0xf bank_mask:0xf// 000000007B7C: 0B1514FA FF015612
	v_mul_f32_dpp v139, v18, v139 row_newbcast:7 row_mask:0xf bank_mask:0xf// 000000007B84: 0B1716FA FF015712
	v_mul_f32_dpp v140, v18, v140 row_newbcast:4 row_mask:0xf bank_mask:0xf// 000000007B8C: 0B1918FA FF015412
	v_mul_f32_dpp v141, v18, v141 row_newbcast:5 row_mask:0xf bank_mask:0xf// 000000007B94: 0B1B1AFA FF015512
	v_mul_f32_dpp v142, v18, v142 row_newbcast:6 row_mask:0xf bank_mask:0xf// 000000007B9C: 0B1D1CFA FF015612
	v_mul_f32_dpp v143, v18, v143 row_newbcast:7 row_mask:0xf bank_mask:0xf// 000000007BA4: 0B1F1EFA FF015712
	v_mul_f32_dpp v144, v18, v144 row_newbcast:8 row_mask:0xf bank_mask:0xf// 000000007BAC: 0B2120FA FF015812
	v_mul_f32_dpp v145, v18, v145 row_newbcast:9 row_mask:0xf bank_mask:0xf// 000000007BB4: 0B2322FA FF015912
	v_mul_f32_dpp v146, v18, v146 row_newbcast:10 row_mask:0xf bank_mask:0xf// 000000007BBC: 0B2524FA FF015A12
	v_mul_f32_dpp v147, v18, v147 row_newbcast:11 row_mask:0xf bank_mask:0xf// 000000007BC4: 0B2726FA FF015B12
	v_mul_f32_dpp v148, v18, v148 row_newbcast:8 row_mask:0xf bank_mask:0xf// 000000007BCC: 0B2928FA FF015812
	v_mul_f32_dpp v149, v18, v149 row_newbcast:9 row_mask:0xf bank_mask:0xf// 000000007BD4: 0B2B2AFA FF015912
	v_mul_f32_dpp v150, v18, v150 row_newbcast:10 row_mask:0xf bank_mask:0xf// 000000007BDC: 0B2D2CFA FF015A12
	v_mul_f32_dpp v151, v18, v151 row_newbcast:11 row_mask:0xf bank_mask:0xf// 000000007BE4: 0B2F2EFA FF015B12
	v_mul_f32_dpp v152, v18, v152 row_newbcast:12 row_mask:0xf bank_mask:0xf// 000000007BEC: 0B3130FA FF015C12
	v_mul_f32_dpp v153, v18, v153 row_newbcast:13 row_mask:0xf bank_mask:0xf// 000000007BF4: 0B3332FA FF015D12
	v_mul_f32_dpp v154, v18, v154 row_newbcast:14 row_mask:0xf bank_mask:0xf// 000000007BFC: 0B3534FA FF015E12
	v_mul_f32_dpp v155, v18, v155 row_newbcast:15 row_mask:0xf bank_mask:0xf// 000000007C04: 0B3736FA FF015F12
	v_mul_f32_dpp v156, v18, v156 row_newbcast:12 row_mask:0xf bank_mask:0xf// 000000007C0C: 0B3938FA FF015C12
	v_mul_f32_dpp v157, v18, v157 row_newbcast:13 row_mask:0xf bank_mask:0xf// 000000007C14: 0B3B3AFA FF015D12
	v_mul_f32_dpp v158, v18, v158 row_newbcast:14 row_mask:0xf bank_mask:0xf// 000000007C1C: 0B3D3CFA FF015E12
	v_mul_f32_dpp v159, v18, v159 row_newbcast:15 row_mask:0xf bank_mask:0xf// 000000007C24: 0B3F3EFA FF015F12
	v_mul_f32_dpp v160, v19, v160 row_newbcast:0 row_mask:0xf bank_mask:0xf// 000000007C2C: 0B4140FA FF015013
	v_mul_f32_dpp v161, v19, v161 row_newbcast:1 row_mask:0xf bank_mask:0xf// 000000007C34: 0B4342FA FF015113
	v_mul_f32_dpp v162, v19, v162 row_newbcast:2 row_mask:0xf bank_mask:0xf// 000000007C3C: 0B4544FA FF015213
	v_mul_f32_dpp v163, v19, v163 row_newbcast:3 row_mask:0xf bank_mask:0xf// 000000007C44: 0B4746FA FF015313
	v_mul_f32_dpp v164, v19, v164 row_newbcast:0 row_mask:0xf bank_mask:0xf// 000000007C4C: 0B4948FA FF015013
	v_mul_f32_dpp v165, v19, v165 row_newbcast:1 row_mask:0xf bank_mask:0xf// 000000007C54: 0B4B4AFA FF015113
	v_mul_f32_dpp v166, v19, v166 row_newbcast:2 row_mask:0xf bank_mask:0xf// 000000007C5C: 0B4D4CFA FF015213
	v_mul_f32_dpp v167, v19, v167 row_newbcast:3 row_mask:0xf bank_mask:0xf// 000000007C64: 0B4F4EFA FF015313
	buffer_load_dword v12, v5, s[16:19], 0 offen               // 000000007C6C: E0501000 80040C05
	v_mov_b32_e32 v22, 0x358637bd                              // 000000007C74: 7E2C02FF 358637BD
	v_mov_b32_e32 v23, 0x358637bd                              // 000000007C7C: 7E2E02FF 358637BD
	v_max3_f32 v22, |v128|, |v129|, v22                        // 000000007C84: D1D30316 045B0380
	v_max3_f32 v22, |v130|, |v131|, v22                        // 000000007C8C: D1D30316 045B0782
	v_max3_f32 v23, |v132|, |v133|, v23                        // 000000007C94: D1D30317 045F0B84
	v_max3_f32 v23, |v134|, |v135|, v23                        // 000000007C9C: D1D30317 045F0F86
	v_max3_f32 v22, |v136|, |v137|, v22                        // 000000007CA4: D1D30316 045B1388
	v_max3_f32 v22, |v138|, |v139|, v22                        // 000000007CAC: D1D30316 045B178A
	v_max3_f32 v23, |v140|, |v141|, v23                        // 000000007CB4: D1D30317 045F1B8C
	v_max3_f32 v23, |v142|, |v143|, v23                        // 000000007CBC: D1D30317 045F1F8E
	v_max3_f32 v22, |v144|, |v145|, v22                        // 000000007CC4: D1D30316 045B2390
	v_max3_f32 v22, |v146|, |v147|, v22                        // 000000007CCC: D1D30316 045B2792
	v_max3_f32 v23, |v148|, |v149|, v23                        // 000000007CD4: D1D30317 045F2B94
	v_max3_f32 v23, |v150|, |v151|, v23                        // 000000007CDC: D1D30317 045F2F96
	v_max3_f32 v22, |v152|, |v153|, v22                        // 000000007CE4: D1D30316 045B3398
	v_max3_f32 v22, |v154|, |v155|, v22                        // 000000007CEC: D1D30316 045B379A
	v_max3_f32 v23, |v156|, |v157|, v23                        // 000000007CF4: D1D30317 045F3B9C
	v_max3_f32 v23, |v158|, |v159|, v23                        // 000000007CFC: D1D30317 045F3F9E
	v_max3_f32 v22, |v160|, |v161|, v22                        // 000000007D04: D1D30316 045B43A0
	v_max3_f32 v22, |v162|, |v163|, v22                        // 000000007D0C: D1D30316 045B47A2
	v_max3_f32 v23, |v164|, |v165|, v23                        // 000000007D14: D1D30317 045F4BA4
	v_max3_f32 v23, |v166|, |v167|, v23                        // 000000007D1C: D1D30317 045F4FA6
	v_lshlrev_b32_e32 v48, 3, v0                               // 000000007D24: 24600083
	s_mul_i32 s60, 0x200, s7                                   // 000000007D28: 923C07FF 00000200
	v_add_u32_e32 v48, s60, v48                                // 000000007D30: 6860603C
	ds_write_b64 v48, v[22:23] offset:16640                    // 000000007D34: D89A4100 00001630
	s_waitcnt lgkmcnt(0)                                       // 000000007D3C: BF8CC07F
	s_barrier                                                  // 000000007D40: BF8A0000
	v_and_b32_e32 v48, 15, v0                                  // 000000007D44: 2660008F
	v_lshlrev_b32_e32 v48, 3, v48                              // 000000007D48: 24606083
	ds_read_b64 v[96:97], v48 offset:16640                     // 000000007D4C: D8EC4100 60000030
	ds_read_b64 v[98:99], v48 offset:16768                     // 000000007D54: D8EC4180 62000030
	ds_read_b64 v[100:101], v48 offset:16896                   // 000000007D5C: D8EC4200 64000030
	ds_read_b64 v[102:103], v48 offset:17024                   // 000000007D64: D8EC4280 66000030
	ds_read_b64 v[104:105], v48 offset:17152                   // 000000007D6C: D8EC4300 68000030
	ds_read_b64 v[106:107], v48 offset:17280                   // 000000007D74: D8EC4380 6A000030
	ds_read_b64 v[108:109], v48 offset:17408                   // 000000007D7C: D8EC4400 6C000030
	ds_read_b64 v[110:111], v48 offset:17536                   // 000000007D84: D8EC4480 6E000030
	ds_read_b64 v[112:113], v48 offset:17664                   // 000000007D8C: D8EC4500 70000030
	ds_read_b64 v[114:115], v48 offset:17792                   // 000000007D94: D8EC4580 72000030
	ds_read_b64 v[116:117], v48 offset:17920                   // 000000007D9C: D8EC4600 74000030
	ds_read_b64 v[118:119], v48 offset:18048                   // 000000007DA4: D8EC4680 76000030
	ds_read_b64 v[120:121], v48 offset:18176                   // 000000007DAC: D8EC4700 78000030
	ds_read_b64 v[122:123], v48 offset:18304                   // 000000007DB4: D8EC4780 7A000030
	ds_read_b64 v[124:125], v48 offset:18432                   // 000000007DBC: D8EC4800 7C000030
	ds_read_b64 v[126:127], v48 offset:18560                   // 000000007DC4: D8EC4880 7E000030
	s_waitcnt lgkmcnt(0)                                       // 000000007DCC: BF8CC07F
	v_max3_f32 v22, |v96|, |v98|, v22                          // 000000007DD0: D1D30316 045AC560
	v_max3_f32 v23, |v97|, |v99|, v23                          // 000000007DD8: D1D30317 045EC761
	v_max3_f32 v22, |v100|, |v102|, v22                        // 000000007DE0: D1D30316 045ACD64
	v_max3_f32 v23, |v101|, |v103|, v23                        // 000000007DE8: D1D30317 045ECF65
	v_max3_f32 v22, |v104|, |v106|, v22                        // 000000007DF0: D1D30316 045AD568
	v_max3_f32 v23, |v105|, |v107|, v23                        // 000000007DF8: D1D30317 045ED769
	v_max3_f32 v22, |v108|, |v110|, v22                        // 000000007E00: D1D30316 045ADD6C
	v_max3_f32 v23, |v109|, |v111|, v23                        // 000000007E08: D1D30317 045EDF6D
	v_max3_f32 v22, |v112|, |v114|, v22                        // 000000007E10: D1D30316 045AE570
	v_max3_f32 v23, |v113|, |v115|, v23                        // 000000007E18: D1D30317 045EE771
	v_max3_f32 v22, |v116|, |v118|, v22                        // 000000007E20: D1D30316 045AED74
	v_max3_f32 v23, |v117|, |v119|, v23                        // 000000007E28: D1D30317 045EEF75
	v_max3_f32 v22, |v120|, |v122|, v22                        // 000000007E30: D1D30316 045AF578
	v_max3_f32 v23, |v121|, |v123|, v23                        // 000000007E38: D1D30317 045EF779
	v_max3_f32 v22, |v124|, |v126|, v22                        // 000000007E40: D1D30316 045AFD7C
	v_max3_f32 v23, |v125|, |v127|, v23                        // 000000007E48: D1D30317 045EFF7D
	v_rcp_f32_e32 v22, v22                                     // 000000007E50: 7E2C4516
	v_rcp_f32_e32 v23, v23                                     // 000000007E54: 7E2E4517
	v_mul_f32_e32 v22, 0x42fe0000, v22                         // 000000007E58: 0A2C2CFF 42FE0000
	v_mul_f32_e32 v23, 0x42fe0000, v23                         // 000000007E60: 0A2E2EFF 42FE0000
	v_mul_f32_e32 v128, v22, v128                              // 000000007E68: 0B010116
	v_mul_f32_e32 v129, v22, v129                              // 000000007E6C: 0B030316
	v_mul_f32_e32 v130, v22, v130                              // 000000007E70: 0B050516
	v_mul_f32_e32 v131, v22, v131                              // 000000007E74: 0B070716
	v_cvt_i32_f32_e32 v128, v128                               // 000000007E78: 7F001180
	v_cvt_i32_f32_e32 v129, v129                               // 000000007E7C: 7F021181
	v_cvt_i32_f32_e32 v130, v130                               // 000000007E80: 7F041182
	v_cvt_i32_f32_e32 v131, v131                               // 000000007E84: 7F061183
	v_perm_b32 v128, v129, v128, s53                           // 000000007E88: D1ED0080 00D70181
	v_perm_b32 v128, v130, v128, s54                           // 000000007E90: D1ED0080 00DB0182
	v_perm_b32 v128, v131, v128, s55                           // 000000007E98: D1ED0080 00DF0183
	v_mul_f32_e32 v132, v23, v132                              // 000000007EA0: 0B090917
	v_mul_f32_e32 v133, v23, v133                              // 000000007EA4: 0B0B0B17
	v_mul_f32_e32 v134, v23, v134                              // 000000007EA8: 0B0D0D17
	v_mul_f32_e32 v135, v23, v135                              // 000000007EAC: 0B0F0F17
	v_cvt_i32_f32_e32 v132, v132                               // 000000007EB0: 7F081184
	v_cvt_i32_f32_e32 v133, v133                               // 000000007EB4: 7F0A1185
	v_cvt_i32_f32_e32 v134, v134                               // 000000007EB8: 7F0C1186
	v_cvt_i32_f32_e32 v135, v135                               // 000000007EBC: 7F0E1187
	v_perm_b32 v129, v133, v132, s53                           // 000000007EC0: D1ED0081 00D70985
	v_perm_b32 v129, v134, v129, s54                           // 000000007EC8: D1ED0081 00DB0386
	v_perm_b32 v129, v135, v129, s55                           // 000000007ED0: D1ED0081 00DF0387
	v_mul_f32_e32 v136, v22, v136                              // 000000007ED8: 0B111116
	v_mul_f32_e32 v137, v22, v137                              // 000000007EDC: 0B131316
	v_mul_f32_e32 v138, v22, v138                              // 000000007EE0: 0B151516
	v_mul_f32_e32 v139, v22, v139                              // 000000007EE4: 0B171716
	v_cvt_i32_f32_e32 v136, v136                               // 000000007EE8: 7F101188
	v_cvt_i32_f32_e32 v137, v137                               // 000000007EEC: 7F121189
	v_cvt_i32_f32_e32 v138, v138                               // 000000007EF0: 7F14118A
	v_cvt_i32_f32_e32 v139, v139                               // 000000007EF4: 7F16118B
	v_perm_b32 v130, v137, v136, s53                           // 000000007EF8: D1ED0082 00D71189
	v_perm_b32 v130, v138, v130, s54                           // 000000007F00: D1ED0082 00DB058A
	v_perm_b32 v130, v139, v130, s55                           // 000000007F08: D1ED0082 00DF058B
	v_mul_f32_e32 v140, v23, v140                              // 000000007F10: 0B191917
	v_mul_f32_e32 v141, v23, v141                              // 000000007F14: 0B1B1B17
	v_mul_f32_e32 v142, v23, v142                              // 000000007F18: 0B1D1D17
	v_mul_f32_e32 v143, v23, v143                              // 000000007F1C: 0B1F1F17
	v_cvt_i32_f32_e32 v140, v140                               // 000000007F20: 7F18118C
	v_cvt_i32_f32_e32 v141, v141                               // 000000007F24: 7F1A118D
	v_cvt_i32_f32_e32 v142, v142                               // 000000007F28: 7F1C118E
	v_cvt_i32_f32_e32 v143, v143                               // 000000007F2C: 7F1E118F
	v_perm_b32 v131, v141, v140, s53                           // 000000007F30: D1ED0083 00D7198D
	v_perm_b32 v131, v142, v131, s54                           // 000000007F38: D1ED0083 00DB078E
	v_perm_b32 v131, v143, v131, s55                           // 000000007F40: D1ED0083 00DF078F
	v_mul_f32_e32 v144, v22, v144                              // 000000007F48: 0B212116
	v_mul_f32_e32 v145, v22, v145                              // 000000007F4C: 0B232316
	v_mul_f32_e32 v146, v22, v146                              // 000000007F50: 0B252516
	v_mul_f32_e32 v147, v22, v147                              // 000000007F54: 0B272716
	v_cvt_i32_f32_e32 v144, v144                               // 000000007F58: 7F201190
	v_cvt_i32_f32_e32 v145, v145                               // 000000007F5C: 7F221191
	v_cvt_i32_f32_e32 v146, v146                               // 000000007F60: 7F241192
	v_cvt_i32_f32_e32 v147, v147                               // 000000007F64: 7F261193
	v_perm_b32 v132, v145, v144, s53                           // 000000007F68: D1ED0084 00D72191
	v_perm_b32 v132, v146, v132, s54                           // 000000007F70: D1ED0084 00DB0992
	v_perm_b32 v132, v147, v132, s55                           // 000000007F78: D1ED0084 00DF0993
	v_mul_f32_e32 v148, v23, v148                              // 000000007F80: 0B292917
	v_mul_f32_e32 v149, v23, v149                              // 000000007F84: 0B2B2B17
	v_mul_f32_e32 v150, v23, v150                              // 000000007F88: 0B2D2D17
	v_mul_f32_e32 v151, v23, v151                              // 000000007F8C: 0B2F2F17
	v_cvt_i32_f32_e32 v148, v148                               // 000000007F90: 7F281194
	v_cvt_i32_f32_e32 v149, v149                               // 000000007F94: 7F2A1195
	v_cvt_i32_f32_e32 v150, v150                               // 000000007F98: 7F2C1196
	v_cvt_i32_f32_e32 v151, v151                               // 000000007F9C: 7F2E1197
	v_perm_b32 v133, v149, v148, s53                           // 000000007FA0: D1ED0085 00D72995
	v_perm_b32 v133, v150, v133, s54                           // 000000007FA8: D1ED0085 00DB0B96
	v_perm_b32 v133, v151, v133, s55                           // 000000007FB0: D1ED0085 00DF0B97
	v_mul_f32_e32 v152, v22, v152                              // 000000007FB8: 0B313116
	v_mul_f32_e32 v153, v22, v153                              // 000000007FBC: 0B333316
	v_mul_f32_e32 v154, v22, v154                              // 000000007FC0: 0B353516
	v_mul_f32_e32 v155, v22, v155                              // 000000007FC4: 0B373716
	v_cvt_i32_f32_e32 v152, v152                               // 000000007FC8: 7F301198
	v_cvt_i32_f32_e32 v153, v153                               // 000000007FCC: 7F321199
	v_cvt_i32_f32_e32 v154, v154                               // 000000007FD0: 7F34119A
	v_cvt_i32_f32_e32 v155, v155                               // 000000007FD4: 7F36119B
	v_perm_b32 v134, v153, v152, s53                           // 000000007FD8: D1ED0086 00D73199
	v_perm_b32 v134, v154, v134, s54                           // 000000007FE0: D1ED0086 00DB0D9A
	v_perm_b32 v134, v155, v134, s55                           // 000000007FE8: D1ED0086 00DF0D9B
	v_mul_f32_e32 v156, v23, v156                              // 000000007FF0: 0B393917
	v_mul_f32_e32 v157, v23, v157                              // 000000007FF4: 0B3B3B17
	v_mul_f32_e32 v158, v23, v158                              // 000000007FF8: 0B3D3D17
	v_mul_f32_e32 v159, v23, v159                              // 000000007FFC: 0B3F3F17
	v_cvt_i32_f32_e32 v156, v156                               // 000000008000: 7F38119C
	v_cvt_i32_f32_e32 v157, v157                               // 000000008004: 7F3A119D
	v_cvt_i32_f32_e32 v158, v158                               // 000000008008: 7F3C119E
	v_cvt_i32_f32_e32 v159, v159                               // 00000000800C: 7F3E119F
	v_perm_b32 v135, v157, v156, s53                           // 000000008010: D1ED0087 00D7399D
	v_perm_b32 v135, v158, v135, s54                           // 000000008018: D1ED0087 00DB0F9E
	v_perm_b32 v135, v159, v135, s55                           // 000000008020: D1ED0087 00DF0F9F
	v_mul_f32_e32 v160, v22, v160                              // 000000008028: 0B414116
	v_mul_f32_e32 v161, v22, v161                              // 00000000802C: 0B434316
	v_mul_f32_e32 v162, v22, v162                              // 000000008030: 0B454516
	v_mul_f32_e32 v163, v22, v163                              // 000000008034: 0B474716
	v_cvt_i32_f32_e32 v160, v160                               // 000000008038: 7F4011A0
	v_cvt_i32_f32_e32 v161, v161                               // 00000000803C: 7F4211A1
	v_cvt_i32_f32_e32 v162, v162                               // 000000008040: 7F4411A2
	v_cvt_i32_f32_e32 v163, v163                               // 000000008044: 7F4611A3
	v_perm_b32 v136, v161, v160, s53                           // 000000008048: D1ED0088 00D741A1
	v_perm_b32 v136, v162, v136, s54                           // 000000008050: D1ED0088 00DB11A2
	v_perm_b32 v136, v163, v136, s55                           // 000000008058: D1ED0088 00DF11A3
	v_mul_f32_e32 v164, v23, v164                              // 000000008060: 0B494917
	v_mul_f32_e32 v165, v23, v165                              // 000000008064: 0B4B4B17
	v_mul_f32_e32 v166, v23, v166                              // 000000008068: 0B4D4D17
	v_mul_f32_e32 v167, v23, v167                              // 00000000806C: 0B4F4F17
	v_cvt_i32_f32_e32 v164, v164                               // 000000008070: 7F4811A4
	v_cvt_i32_f32_e32 v165, v165                               // 000000008074: 7F4A11A5
	v_cvt_i32_f32_e32 v166, v166                               // 000000008078: 7F4C11A6
	v_cvt_i32_f32_e32 v167, v167                               // 00000000807C: 7F4E11A7
	v_perm_b32 v137, v165, v164, s53                           // 000000008080: D1ED0089 00D749A5
	v_perm_b32 v137, v166, v137, s54                           // 000000008088: D1ED0089 00DB13A6
	v_perm_b32 v137, v167, v137, s55                           // 000000008090: D1ED0089 00DF13A7
	v_rcp_f32_e32 v24, v22                                     // 000000008098: 7E304516
	v_rcp_f32_e32 v25, v23                                     // 00000000809C: 7E324517
	v_lshrrev_b32_e32 v48, 5, v0                               // 0000000080A0: 20600085
	v_lshlrev_b32_e32 v49, 5, v48                              // 0000000080A4: 24626085
	v_and_b32_e32 v48, 31, v0                                  // 0000000080A8: 2660009F
	v_lshrrev_b32_e32 v50, 4, v48                              // 0000000080AC: 20646084
	v_add_u32_e32 v49, v50, v49                                // 0000000080B0: 68626332
	v_and_b32_e32 v48, 15, v0                                  // 0000000080B4: 2660008F
	v_lshlrev_b32_e32 v48, 1, v48                              // 0000000080B8: 24606081
	v_add_u32_e32 v49, v48, v49                                // 0000000080BC: 68626330
	v_lshlrev_b32_e32 v48, 2, v49                              // 0000000080C0: 24606282
	s_mul_i32 s60, 0x100, s7                                   // 0000000080C4: 923C07FF 00000100
	v_add_u32_e64 v48, v48, s60                                // 0000000080CC: D1340030 00007930
	ds_write_b32 v48, v128 offset:18688                        // 0000000080D4: D81A4900 00008030
	ds_write_b32 v48, v129 offset:23808                        // 0000000080DC: D81A5D00 00008130
	ds_write_b32 v48, v130 offset:19712                        // 0000000080E4: D81A4D00 00008230
	ds_write_b32 v48, v131 offset:24832                        // 0000000080EC: D81A6100 00008330
	ds_write_b32 v48, v132 offset:20736                        // 0000000080F4: D81A5100 00008430
	ds_write_b32 v48, v133 offset:25856                        // 0000000080FC: D81A6500 00008530
	ds_write_b32 v48, v134 offset:21760                        // 000000008104: D81A5500 00008630
	ds_write_b32 v48, v135 offset:26880                        // 00000000810C: D81A6900 00008730
	ds_write_b32 v48, v136 offset:22784                        // 000000008114: D81A5900 00008830
	ds_write_b32 v48, v137 offset:27904                        // 00000000811C: D81A6D00 00008930
	s_waitcnt lgkmcnt(0)                                       // 000000008124: BF8CC07F
	s_barrier                                                  // 000000008128: BF8A0000
	v_lshrrev_b32_e32 v48, 4, v0                               // 00000000812C: 20600084
	v_lshlrev_b32_e32 v49, 6, v48                              // 000000008130: 24626086
	v_and_b32_e32 v48, 15, v0                                  // 000000008134: 2660008F
	v_lshlrev_b32_e32 v48, 1, v48                              // 000000008138: 24606081
	v_add_u32_e32 v49, v48, v49                                // 00000000813C: 68626330
	v_lshlrev_b32_e32 v48, 2, v49                              // 000000008140: 24606282
	ds_read_b64 v[128:129], v48 offset:18688                   // 000000008144: D8EC4900 80000030
	ds_read_b64 v[130:131], v48 offset:18816                   // 00000000814C: D8EC4980 82000030
	ds_read_b64 v[132:133], v48 offset:19712                   // 000000008154: D8EC4D00 84000030
	ds_read_b64 v[134:135], v48 offset:19840                   // 00000000815C: D8EC4D80 86000030
	ds_read_b64 v[136:137], v48 offset:20736                   // 000000008164: D8EC5100 88000030
	ds_read_b64 v[138:139], v48 offset:20864                   // 00000000816C: D8EC5180 8A000030
	ds_read_b64 v[140:141], v48 offset:21760                   // 000000008174: D8EC5500 8C000030
	ds_read_b64 v[142:143], v48 offset:21888                   // 00000000817C: D8EC5580 8E000030
	ds_read_b64 v[144:145], v48 offset:22784                   // 000000008184: D8EC5900 90000030
	ds_read_b64 v[146:147], v48 offset:22912                   // 00000000818C: D8EC5980 92000030
	ds_read_b64 v[148:149], v48 offset:23808                   // 000000008194: D8EC5D00 94000030
	ds_read_b64 v[150:151], v48 offset:23936                   // 00000000819C: D8EC5D80 96000030
	ds_read_b64 v[152:153], v48 offset:24832                   // 0000000081A4: D8EC6100 98000030
	ds_read_b64 v[154:155], v48 offset:24960                   // 0000000081AC: D8EC6180 9A000030
	ds_read_b64 v[156:157], v48 offset:25856                   // 0000000081B4: D8EC6500 9C000030
	ds_read_b64 v[158:159], v48 offset:25984                   // 0000000081BC: D8EC6580 9E000030
	ds_read_b64 v[160:161], v48 offset:26880                   // 0000000081C4: D8EC6900 A0000030
	ds_read_b64 v[162:163], v48 offset:27008                   // 0000000081CC: D8EC6980 A2000030
	ds_read_b64 v[164:165], v48 offset:27904                   // 0000000081D4: D8EC6D00 A4000030
	ds_read_b64 v[166:167], v48 offset:28032                   // 0000000081DC: D8EC6D80 A6000030
	s_add_u32 s12, s56, s12                                    // 0000000081E4: 800C0C38
	s_addc_u32 s13, 0, s13                                     // 0000000081E8: 820D0D80
	s_add_u32 s16, s79, s16                                    // 0000000081EC: 8010104F
	s_addc_u32 s17, 0, s17                                     // 0000000081F0: 82111180
	s_mov_b32 s80, 0                                           // 0000000081F4: BED00080
	s_waitcnt vmcnt(0) expcnt(0) lgkmcnt(0)                    // 0000000081F8: BF8C0000

00000000000081fc <label_14FF>:
	s_waitcnt vmcnt(33)                                        // 0000000081FC: BF8C8F71
	s_barrier                                                  // 000000008200: BF8A0000
	v_mfma_i32_16x16x32_i8 v[168:171], a[0:1], v[128:129], 0   // 000000008204: D3D700A8 0A030100
	buffer_load_dwordx4 a[80:83], v39, s[12:15], 0 offen       // 00000000820C: E05C1000 80835027
	v_mfma_i32_16x16x32_i8 v[168:171], a[2:3], v[130:131], v[168:171]// 000000008214: D3D700A8 0EA30502
	v_mfma_i32_16x16x32_i8 v[172:175], a[0:1], v[148:149], 0   // 00000000821C: D3D700AC 0A032900
	v_mfma_i32_16x16x32_i8 v[172:175], a[2:3], v[150:151], v[172:175]// 000000008224: D3D700AC 0EB32D02
	v_mfma_i32_16x16x32_i8 v[176:179], a[4:5], v[128:129], 0   // 00000000822C: D3D700B0 0A030104
	buffer_load_dwordx4 a[84:87], v40, s[12:15], 0 offen       // 000000008234: E05C1000 80835428
	v_mfma_i32_16x16x32_i8 v[176:179], a[6:7], v[130:131], v[176:179]// 00000000823C: D3D700B0 0EC30506
	v_mfma_i32_16x16x32_i8 v[180:183], a[4:5], v[148:149], 0   // 000000008244: D3D700B4 0A032904
	v_mfma_i32_16x16x32_i8 v[180:183], a[6:7], v[150:151], v[180:183]// 00000000824C: D3D700B4 0ED32D06
	v_mfma_i32_16x16x32_i8 v[184:187], a[8:9], v[128:129], 0   // 000000008254: D3D700B8 0A030108
	buffer_load_dwordx4 a[88:91], v41, s[12:15], 0 offen       // 00000000825C: E05C1000 80835829
	v_mfma_i32_16x16x32_i8 v[184:187], a[10:11], v[130:131], v[184:187]// 000000008264: D3D700B8 0EE3050A
	v_mfma_i32_16x16x32_i8 v[188:191], a[8:9], v[148:149], 0   // 00000000826C: D3D700BC 0A032908
	v_mfma_i32_16x16x32_i8 v[188:191], a[10:11], v[150:151], v[188:191]// 000000008274: D3D700BC 0EF32D0A
	v_mfma_i32_16x16x32_i8 v[192:195], a[12:13], v[128:129], 0 // 00000000827C: D3D700C0 0A03010C
	buffer_load_dwordx4 a[92:95], v42, s[12:15], 0 offen       // 000000008284: E05C1000 80835C2A
	s_add_u32 s12, s78, s12                                    // 00000000828C: 800C0C4E
	s_addc_u32 s13, 0, s13                                     // 000000008290: 820D0D80
	v_mfma_i32_16x16x32_i8 v[192:195], a[14:15], v[130:131], v[192:195]// 000000008294: D3D700C0 0F03050E
	v_mfma_i32_16x16x32_i8 v[196:199], a[12:13], v[148:149], 0 // 00000000829C: D3D700C4 0A03290C
	v_mfma_i32_16x16x32_i8 v[196:199], a[14:15], v[150:151], v[196:199]// 0000000082A4: D3D700C4 0F132D0E
	s_waitcnt vmcnt(33)                                        // 0000000082AC: BF8C8F71
	v_mfma_i32_16x16x32_i8 v[168:171], a[16:17], v[132:133], v[168:171]// 0000000082B0: D3D700A8 0EA30910
	buffer_load_dwordx4 a[96:99], v39, s[12:15], 0 offen       // 0000000082B8: E05C1000 80836027
	v_mfma_i32_16x16x32_i8 v[168:171], a[18:19], v[134:135], v[168:171]// 0000000082C0: D3D700A8 0EA30D12
	v_mfma_i32_16x16x32_i8 v[172:175], a[16:17], v[152:153], v[172:175]// 0000000082C8: D3D700AC 0EB33110
	v_mfma_i32_16x16x32_i8 v[172:175], a[18:19], v[154:155], v[172:175]// 0000000082D0: D3D700AC 0EB33512
	v_mfma_i32_16x16x32_i8 v[176:179], a[20:21], v[132:133], v[176:179]// 0000000082D8: D3D700B0 0EC30914
	buffer_load_dwordx4 a[100:103], v40, s[12:15], 0 offen     // 0000000082E0: E05C1000 80836428
	v_mfma_i32_16x16x32_i8 v[176:179], a[22:23], v[134:135], v[176:179]// 0000000082E8: D3D700B0 0EC30D16
	v_mfma_i32_16x16x32_i8 v[180:183], a[20:21], v[152:153], v[180:183]// 0000000082F0: D3D700B4 0ED33114
	v_mfma_i32_16x16x32_i8 v[180:183], a[22:23], v[154:155], v[180:183]// 0000000082F8: D3D700B4 0ED33516
	v_mfma_i32_16x16x32_i8 v[184:187], a[24:25], v[132:133], v[184:187]// 000000008300: D3D700B8 0EE30918
	buffer_load_dwordx4 a[104:107], v41, s[12:15], 0 offen     // 000000008308: E05C1000 80836829
	v_mfma_i32_16x16x32_i8 v[184:187], a[26:27], v[134:135], v[184:187]// 000000008310: D3D700B8 0EE30D1A
	v_mfma_i32_16x16x32_i8 v[188:191], a[24:25], v[152:153], v[188:191]// 000000008318: D3D700BC 0EF33118
	v_mfma_i32_16x16x32_i8 v[188:191], a[26:27], v[154:155], v[188:191]// 000000008320: D3D700BC 0EF3351A
	v_mfma_i32_16x16x32_i8 v[192:195], a[28:29], v[132:133], v[192:195]// 000000008328: D3D700C0 0F03091C
	buffer_load_dwordx4 a[108:111], v42, s[12:15], 0 offen     // 000000008330: E05C1000 80836C2A
	s_add_u32 s12, s78, s12                                    // 000000008338: 800C0C4E
	s_addc_u32 s13, 0, s13                                     // 00000000833C: 820D0D80
	v_mfma_i32_16x16x32_i8 v[192:195], a[30:31], v[134:135], v[192:195]// 000000008340: D3D700C0 0F030D1E
	v_mfma_i32_16x16x32_i8 v[196:199], a[28:29], v[152:153], v[196:199]// 000000008348: D3D700C4 0F13311C
	v_mfma_i32_16x16x32_i8 v[196:199], a[30:31], v[154:155], v[196:199]// 000000008350: D3D700C4 0F13351E
	s_waitcnt vmcnt(33)                                        // 000000008358: BF8C8F71
	v_mfma_i32_16x16x32_i8 v[168:171], a[32:33], v[136:137], v[168:171]// 00000000835C: D3D700A8 0EA31120
	buffer_load_dwordx4 a[112:115], v39, s[12:15], 0 offen     // 000000008364: E05C1000 80837027
	v_mfma_i32_16x16x32_i8 v[168:171], a[34:35], v[138:139], v[168:171]// 00000000836C: D3D700A8 0EA31522
	v_mfma_i32_16x16x32_i8 v[172:175], a[32:33], v[156:157], v[172:175]// 000000008374: D3D700AC 0EB33920
	v_mfma_i32_16x16x32_i8 v[172:175], a[34:35], v[158:159], v[172:175]// 00000000837C: D3D700AC 0EB33D22
	v_mfma_i32_16x16x32_i8 v[176:179], a[36:37], v[136:137], v[176:179]// 000000008384: D3D700B0 0EC31124
	buffer_load_dwordx4 a[116:119], v40, s[12:15], 0 offen     // 00000000838C: E05C1000 80837428
	v_mfma_i32_16x16x32_i8 v[176:179], a[38:39], v[138:139], v[176:179]// 000000008394: D3D700B0 0EC31526
	v_mfma_i32_16x16x32_i8 v[180:183], a[36:37], v[156:157], v[180:183]// 00000000839C: D3D700B4 0ED33924
	v_mfma_i32_16x16x32_i8 v[180:183], a[38:39], v[158:159], v[180:183]// 0000000083A4: D3D700B4 0ED33D26
	v_mfma_i32_16x16x32_i8 v[184:187], a[40:41], v[136:137], v[184:187]// 0000000083AC: D3D700B8 0EE31128
	buffer_load_dwordx4 a[120:123], v41, s[12:15], 0 offen     // 0000000083B4: E05C1000 80837829
	v_mfma_i32_16x16x32_i8 v[184:187], a[42:43], v[138:139], v[184:187]// 0000000083BC: D3D700B8 0EE3152A
	v_mfma_i32_16x16x32_i8 v[188:191], a[40:41], v[156:157], v[188:191]// 0000000083C4: D3D700BC 0EF33928
	v_mfma_i32_16x16x32_i8 v[188:191], a[42:43], v[158:159], v[188:191]// 0000000083CC: D3D700BC 0EF33D2A
	v_mfma_i32_16x16x32_i8 v[192:195], a[44:45], v[136:137], v[192:195]// 0000000083D4: D3D700C0 0F03112C
	buffer_load_dwordx4 a[124:127], v42, s[12:15], 0 offen     // 0000000083DC: E05C1000 80837C2A
	s_add_u32 s12, s78, s12                                    // 0000000083E4: 800C0C4E
	s_addc_u32 s13, 0, s13                                     // 0000000083E8: 820D0D80
	v_mfma_i32_16x16x32_i8 v[192:195], a[46:47], v[138:139], v[192:195]// 0000000083EC: D3D700C0 0F03152E
	v_mfma_i32_16x16x32_i8 v[196:199], a[44:45], v[156:157], v[196:199]// 0000000083F4: D3D700C4 0F13392C
	v_mfma_i32_16x16x32_i8 v[196:199], a[46:47], v[158:159], v[196:199]// 0000000083FC: D3D700C4 0F133D2E
	s_waitcnt vmcnt(33)                                        // 000000008404: BF8C8F71
	v_mfma_i32_16x16x32_i8 v[168:171], a[48:49], v[140:141], v[168:171]// 000000008408: D3D700A8 0EA31930
	buffer_load_dwordx4 a[128:131], v39, s[12:15], 0 offen     // 000000008410: E05C1000 80838027
	v_mfma_i32_16x16x32_i8 v[168:171], a[50:51], v[142:143], v[168:171]// 000000008418: D3D700A8 0EA31D32
	v_mfma_i32_16x16x32_i8 v[172:175], a[48:49], v[160:161], v[172:175]// 000000008420: D3D700AC 0EB34130
	v_mfma_i32_16x16x32_i8 v[172:175], a[50:51], v[162:163], v[172:175]// 000000008428: D3D700AC 0EB34532
	v_mfma_i32_16x16x32_i8 v[176:179], a[52:53], v[140:141], v[176:179]// 000000008430: D3D700B0 0EC31934
	buffer_load_dwordx4 a[132:135], v40, s[12:15], 0 offen     // 000000008438: E05C1000 80838428
	v_mfma_i32_16x16x32_i8 v[176:179], a[54:55], v[142:143], v[176:179]// 000000008440: D3D700B0 0EC31D36
	v_mfma_i32_16x16x32_i8 v[180:183], a[52:53], v[160:161], v[180:183]// 000000008448: D3D700B4 0ED34134
	v_mfma_i32_16x16x32_i8 v[180:183], a[54:55], v[162:163], v[180:183]// 000000008450: D3D700B4 0ED34536
	v_mfma_i32_16x16x32_i8 v[184:187], a[56:57], v[140:141], v[184:187]// 000000008458: D3D700B8 0EE31938
	buffer_load_dwordx4 a[136:139], v41, s[12:15], 0 offen     // 000000008460: E05C1000 80838829
	v_mfma_i32_16x16x32_i8 v[184:187], a[58:59], v[142:143], v[184:187]// 000000008468: D3D700B8 0EE31D3A
	v_mfma_i32_16x16x32_i8 v[188:191], a[56:57], v[160:161], v[188:191]// 000000008470: D3D700BC 0EF34138
	v_mfma_i32_16x16x32_i8 v[188:191], a[58:59], v[162:163], v[188:191]// 000000008478: D3D700BC 0EF3453A
	v_mfma_i32_16x16x32_i8 v[192:195], a[60:61], v[140:141], v[192:195]// 000000008480: D3D700C0 0F03193C
	buffer_load_dwordx4 a[140:143], v42, s[12:15], 0 offen     // 000000008488: E05C1000 80838C2A
	s_add_u32 s12, s78, s12                                    // 000000008490: 800C0C4E
	s_addc_u32 s13, 0, s13                                     // 000000008494: 820D0D80
	v_mfma_i32_16x16x32_i8 v[192:195], a[62:63], v[142:143], v[192:195]// 000000008498: D3D700C0 0F031D3E
	v_mfma_i32_16x16x32_i8 v[196:199], a[60:61], v[160:161], v[196:199]// 0000000084A0: D3D700C4 0F13413C
	v_mfma_i32_16x16x32_i8 v[196:199], a[62:63], v[162:163], v[196:199]// 0000000084A8: D3D700C4 0F13453E
	s_waitcnt vmcnt(32)                                        // 0000000084B0: BF8C8F70
	v_mfma_i32_16x16x32_i8 v[168:171], a[64:65], v[144:145], v[168:171]// 0000000084B4: D3D700A8 0EA32140
	buffer_load_dwordx4 a[144:147], v39, s[12:15], 0 offen     // 0000000084BC: E05C1000 80839027
	v_mfma_i32_16x16x32_i8 v[168:171], a[66:67], v[146:147], v[168:171]// 0000000084C4: D3D700A8 0EA32542
	v_mfma_i32_16x16x32_i8 v[172:175], a[64:65], v[164:165], v[172:175]// 0000000084CC: D3D700AC 0EB34940
	buffer_load_dword v13, v5, s[16:19], 0 offen               // 0000000084D4: E0501000 80040D05
	v_mfma_i32_16x16x32_i8 v[172:175], a[66:67], v[166:167], v[172:175]// 0000000084DC: D3D700AC 0EB34D42
	v_mfma_i32_16x16x32_i8 v[176:179], a[68:69], v[144:145], v[176:179]// 0000000084E4: D3D700B0 0EC32144
	buffer_load_dwordx4 a[148:151], v40, s[12:15], 0 offen     // 0000000084EC: E05C1000 80839428
	v_mfma_i32_16x16x32_i8 v[176:179], a[70:71], v[146:147], v[176:179]// 0000000084F4: D3D700B0 0EC32546
	v_mfma_i32_16x16x32_i8 v[180:183], a[68:69], v[164:165], v[180:183]// 0000000084FC: D3D700B4 0ED34944
	v_mfma_i32_16x16x32_i8 v[180:183], a[70:71], v[166:167], v[180:183]// 000000008504: D3D700B4 0ED34D46
	v_mfma_i32_16x16x32_i8 v[184:187], a[72:73], v[144:145], v[184:187]// 00000000850C: D3D700B8 0EE32148
	buffer_load_dwordx4 a[152:155], v41, s[12:15], 0 offen     // 000000008514: E05C1000 80839829
	v_mfma_i32_16x16x32_i8 v[184:187], a[74:75], v[146:147], v[184:187]// 00000000851C: D3D700B8 0EE3254A
	v_mfma_i32_16x16x32_i8 v[188:191], a[72:73], v[164:165], v[188:191]// 000000008524: D3D700BC 0EF34948
	v_mfma_i32_16x16x32_i8 v[188:191], a[74:75], v[166:167], v[188:191]// 00000000852C: D3D700BC 0EF34D4A
	v_mfma_i32_16x16x32_i8 v[192:195], a[76:77], v[144:145], v[192:195]// 000000008534: D3D700C0 0F03214C
	buffer_load_dwordx4 a[156:159], v42, s[12:15], 0 offen     // 00000000853C: E05C1000 80839C2A
	v_mfma_i32_16x16x32_i8 v[192:195], a[78:79], v[146:147], v[192:195]// 000000008544: D3D700C0 0F03254E
	v_mfma_i32_16x16x32_i8 v[196:199], a[76:77], v[164:165], v[196:199]// 00000000854C: D3D700C4 0F13494C
	v_mfma_i32_16x16x32_i8 v[196:199], a[78:79], v[166:167], v[196:199]// 000000008554: D3D700C4 0F134D4E
	s_add_u32 s60, 0x200, s80                                  // 00000000855C: 803C50FF 00000200
	s_cmp_lt_u32 s60, s81                                      // 000000008564: BF0A513C
	s_cselect_b32 s56, s56, 0                                  // 000000008568: 85388038
	s_cselect_b32 s78, s78, 0                                  // 00000000856C: 854E804E
	s_cselect_b32 s79, s79, 0                                  // 000000008570: 854F804F
	s_add_u32 s12, s56, s12                                    // 000000008574: 800C0C38
	s_addc_u32 s13, 0, s13                                     // 000000008578: 820D0D80
	s_add_u32 s16, s79, s16                                    // 00000000857C: 8010104F
	s_addc_u32 s17, 0, s17                                     // 000000008580: 82111180
	v_cvt_f32_i32_e32 v168, v168                               // 000000008584: 7F500BA8
	v_cvt_f32_i32_e32 v169, v169                               // 000000008588: 7F520BA9
	v_cvt_f32_i32_e32 v170, v170                               // 00000000858C: 7F540BAA
	v_cvt_f32_i32_e32 v171, v171                               // 000000008590: 7F560BAB
	v_mul_f32_e32 v168, v24, v168                              // 000000008594: 0B515118
	v_mul_f32_e32 v169, v24, v169                              // 000000008598: 0B535318
	v_mul_f32_e32 v170, v24, v170                              // 00000000859C: 0B555518
	v_mul_f32_e32 v171, v24, v171                              // 0000000085A0: 0B575718
	v_mul_f32_dpp v168, v12, v168 row_newbcast:0 row_mask:0xf bank_mask:0xf// 0000000085A4: 0B5150FA FF01500C
	v_mul_f32_dpp v169, v12, v169 row_newbcast:1 row_mask:0xf bank_mask:0xf// 0000000085AC: 0B5352FA FF01510C
	v_mul_f32_dpp v170, v12, v170 row_newbcast:2 row_mask:0xf bank_mask:0xf// 0000000085B4: 0B5554FA FF01520C
	v_mul_f32_dpp v171, v12, v171 row_newbcast:3 row_mask:0xf bank_mask:0xf// 0000000085BC: 0B5756FA FF01530C
	v_mul_f32_e32 v168, v20, v168                              // 0000000085C4: 0B515114
	v_mul_f32_e32 v169, v20, v169                              // 0000000085C8: 0B535314
	v_mul_f32_e32 v170, v20, v170                              // 0000000085CC: 0B555514
	v_mul_f32_e32 v171, v20, v171                              // 0000000085D0: 0B575714
	v_cvt_f32_i32_e32 v172, v172                               // 0000000085D4: 7F580BAC
	v_cvt_f32_i32_e32 v173, v173                               // 0000000085D8: 7F5A0BAD
	v_cvt_f32_i32_e32 v174, v174                               // 0000000085DC: 7F5C0BAE
	v_cvt_f32_i32_e32 v175, v175                               // 0000000085E0: 7F5E0BAF
	v_mul_f32_e32 v172, v25, v172                              // 0000000085E4: 0B595919
	v_mul_f32_e32 v173, v25, v173                              // 0000000085E8: 0B5B5B19
	v_mul_f32_e32 v174, v25, v174                              // 0000000085EC: 0B5D5D19
	v_mul_f32_e32 v175, v25, v175                              // 0000000085F0: 0B5F5F19
	v_mul_f32_dpp v172, v12, v172 row_newbcast:0 row_mask:0xf bank_mask:0xf// 0000000085F4: 0B5958FA FF01500C
	v_mul_f32_dpp v173, v12, v173 row_newbcast:1 row_mask:0xf bank_mask:0xf// 0000000085FC: 0B5B5AFA FF01510C
	v_mul_f32_dpp v174, v12, v174 row_newbcast:2 row_mask:0xf bank_mask:0xf// 000000008604: 0B5D5CFA FF01520C
	v_mul_f32_dpp v175, v12, v175 row_newbcast:3 row_mask:0xf bank_mask:0xf// 00000000860C: 0B5F5EFA FF01530C
	v_mul_f32_e32 v172, v21, v172                              // 000000008614: 0B595915
	v_mul_f32_e32 v173, v21, v173                              // 000000008618: 0B5B5B15
	v_mul_f32_e32 v174, v21, v174                              // 00000000861C: 0B5D5D15
	v_mul_f32_e32 v175, v21, v175                              // 000000008620: 0B5F5F15
	v_cvt_f32_i32_e32 v176, v176                               // 000000008624: 7F600BB0
	v_cvt_f32_i32_e32 v177, v177                               // 000000008628: 7F620BB1
	v_cvt_f32_i32_e32 v178, v178                               // 00000000862C: 7F640BB2
	v_cvt_f32_i32_e32 v179, v179                               // 000000008630: 7F660BB3
	v_mul_f32_e32 v176, v24, v176                              // 000000008634: 0B616118
	v_mul_f32_e32 v177, v24, v177                              // 000000008638: 0B636318
	v_mul_f32_e32 v178, v24, v178                              // 00000000863C: 0B656518
	v_mul_f32_e32 v179, v24, v179                              // 000000008640: 0B676718
	v_mul_f32_dpp v176, v12, v176 row_newbcast:4 row_mask:0xf bank_mask:0xf// 000000008644: 0B6160FA FF01540C
	v_mul_f32_dpp v177, v12, v177 row_newbcast:5 row_mask:0xf bank_mask:0xf// 00000000864C: 0B6362FA FF01550C
	v_mul_f32_dpp v178, v12, v178 row_newbcast:6 row_mask:0xf bank_mask:0xf// 000000008654: 0B6564FA FF01560C
	v_mul_f32_dpp v179, v12, v179 row_newbcast:7 row_mask:0xf bank_mask:0xf// 00000000865C: 0B6766FA FF01570C
	v_mul_f32_e32 v176, v20, v176                              // 000000008664: 0B616114
	v_mul_f32_e32 v177, v20, v177                              // 000000008668: 0B636314
	v_mul_f32_e32 v178, v20, v178                              // 00000000866C: 0B656514
	v_mul_f32_e32 v179, v20, v179                              // 000000008670: 0B676714
	v_cvt_f32_i32_e32 v180, v180                               // 000000008674: 7F680BB4
	v_cvt_f32_i32_e32 v181, v181                               // 000000008678: 7F6A0BB5
	v_cvt_f32_i32_e32 v182, v182                               // 00000000867C: 7F6C0BB6
	v_cvt_f32_i32_e32 v183, v183                               // 000000008680: 7F6E0BB7
	v_mul_f32_e32 v180, v25, v180                              // 000000008684: 0B696919
	v_mul_f32_e32 v181, v25, v181                              // 000000008688: 0B6B6B19
	v_mul_f32_e32 v182, v25, v182                              // 00000000868C: 0B6D6D19
	v_mul_f32_e32 v183, v25, v183                              // 000000008690: 0B6F6F19
	v_mul_f32_dpp v180, v12, v180 row_newbcast:4 row_mask:0xf bank_mask:0xf// 000000008694: 0B6968FA FF01540C
	v_mul_f32_dpp v181, v12, v181 row_newbcast:5 row_mask:0xf bank_mask:0xf// 00000000869C: 0B6B6AFA FF01550C
	v_mul_f32_dpp v182, v12, v182 row_newbcast:6 row_mask:0xf bank_mask:0xf// 0000000086A4: 0B6D6CFA FF01560C
	v_mul_f32_dpp v183, v12, v183 row_newbcast:7 row_mask:0xf bank_mask:0xf// 0000000086AC: 0B6F6EFA FF01570C
	v_mul_f32_e32 v180, v21, v180                              // 0000000086B4: 0B696915
	v_mul_f32_e32 v181, v21, v181                              // 0000000086B8: 0B6B6B15
	v_mul_f32_e32 v182, v21, v182                              // 0000000086BC: 0B6D6D15
	v_mul_f32_e32 v183, v21, v183                              // 0000000086C0: 0B6F6F15
	v_cvt_f32_i32_e32 v184, v184                               // 0000000086C4: 7F700BB8
	v_cvt_f32_i32_e32 v185, v185                               // 0000000086C8: 7F720BB9
	v_cvt_f32_i32_e32 v186, v186                               // 0000000086CC: 7F740BBA
	v_cvt_f32_i32_e32 v187, v187                               // 0000000086D0: 7F760BBB
	v_mul_f32_e32 v184, v24, v184                              // 0000000086D4: 0B717118
	v_mul_f32_e32 v185, v24, v185                              // 0000000086D8: 0B737318
	v_mul_f32_e32 v186, v24, v186                              // 0000000086DC: 0B757518
	v_mul_f32_e32 v187, v24, v187                              // 0000000086E0: 0B777718
	v_mul_f32_dpp v184, v12, v184 row_newbcast:8 row_mask:0xf bank_mask:0xf// 0000000086E4: 0B7170FA FF01580C
	v_mul_f32_dpp v185, v12, v185 row_newbcast:9 row_mask:0xf bank_mask:0xf// 0000000086EC: 0B7372FA FF01590C
	v_mul_f32_dpp v186, v12, v186 row_newbcast:10 row_mask:0xf bank_mask:0xf// 0000000086F4: 0B7574FA FF015A0C
	v_mul_f32_dpp v187, v12, v187 row_newbcast:11 row_mask:0xf bank_mask:0xf// 0000000086FC: 0B7776FA FF015B0C
	v_mul_f32_e32 v184, v20, v184                              // 000000008704: 0B717114
	v_mul_f32_e32 v185, v20, v185                              // 000000008708: 0B737314
	v_mul_f32_e32 v186, v20, v186                              // 00000000870C: 0B757514
	v_mul_f32_e32 v187, v20, v187                              // 000000008710: 0B777714
	v_cvt_f32_i32_e32 v188, v188                               // 000000008714: 7F780BBC
	v_cvt_f32_i32_e32 v189, v189                               // 000000008718: 7F7A0BBD
	v_cvt_f32_i32_e32 v190, v190                               // 00000000871C: 7F7C0BBE
	v_cvt_f32_i32_e32 v191, v191                               // 000000008720: 7F7E0BBF
	v_mul_f32_e32 v188, v25, v188                              // 000000008724: 0B797919
	v_mul_f32_e32 v189, v25, v189                              // 000000008728: 0B7B7B19
	v_mul_f32_e32 v190, v25, v190                              // 00000000872C: 0B7D7D19
	v_mul_f32_e32 v191, v25, v191                              // 000000008730: 0B7F7F19
	v_mul_f32_dpp v188, v12, v188 row_newbcast:8 row_mask:0xf bank_mask:0xf// 000000008734: 0B7978FA FF01580C
	v_mul_f32_dpp v189, v12, v189 row_newbcast:9 row_mask:0xf bank_mask:0xf// 00000000873C: 0B7B7AFA FF01590C
	v_mul_f32_dpp v190, v12, v190 row_newbcast:10 row_mask:0xf bank_mask:0xf// 000000008744: 0B7D7CFA FF015A0C
	v_mul_f32_dpp v191, v12, v191 row_newbcast:11 row_mask:0xf bank_mask:0xf// 00000000874C: 0B7F7EFA FF015B0C
	v_mul_f32_e32 v188, v21, v188                              // 000000008754: 0B797915
	v_mul_f32_e32 v189, v21, v189                              // 000000008758: 0B7B7B15
	v_mul_f32_e32 v190, v21, v190                              // 00000000875C: 0B7D7D15
	v_mul_f32_e32 v191, v21, v191                              // 000000008760: 0B7F7F15
	v_cvt_f32_i32_e32 v192, v192                               // 000000008764: 7F800BC0
	v_cvt_f32_i32_e32 v193, v193                               // 000000008768: 7F820BC1
	v_cvt_f32_i32_e32 v194, v194                               // 00000000876C: 7F840BC2
	v_cvt_f32_i32_e32 v195, v195                               // 000000008770: 7F860BC3
	v_mul_f32_e32 v192, v24, v192                              // 000000008774: 0B818118
	v_mul_f32_e32 v193, v24, v193                              // 000000008778: 0B838318
	v_mul_f32_e32 v194, v24, v194                              // 00000000877C: 0B858518
	v_mul_f32_e32 v195, v24, v195                              // 000000008780: 0B878718
	v_mul_f32_dpp v192, v12, v192 row_newbcast:12 row_mask:0xf bank_mask:0xf// 000000008784: 0B8180FA FF015C0C
	v_mul_f32_dpp v193, v12, v193 row_newbcast:13 row_mask:0xf bank_mask:0xf// 00000000878C: 0B8382FA FF015D0C
	v_mul_f32_dpp v194, v12, v194 row_newbcast:14 row_mask:0xf bank_mask:0xf// 000000008794: 0B8584FA FF015E0C
	v_mul_f32_dpp v195, v12, v195 row_newbcast:15 row_mask:0xf bank_mask:0xf// 00000000879C: 0B8786FA FF015F0C
	v_mul_f32_e32 v192, v20, v192                              // 0000000087A4: 0B818114
	v_mul_f32_e32 v193, v20, v193                              // 0000000087A8: 0B838314
	v_mul_f32_e32 v194, v20, v194                              // 0000000087AC: 0B858514
	v_mul_f32_e32 v195, v20, v195                              // 0000000087B0: 0B878714
	v_cvt_f32_i32_e32 v196, v196                               // 0000000087B4: 7F880BC4
	v_cvt_f32_i32_e32 v197, v197                               // 0000000087B8: 7F8A0BC5
	v_cvt_f32_i32_e32 v198, v198                               // 0000000087BC: 7F8C0BC6
	v_cvt_f32_i32_e32 v199, v199                               // 0000000087C0: 7F8E0BC7
	v_mul_f32_e32 v196, v25, v196                              // 0000000087C4: 0B898919
	v_mul_f32_e32 v197, v25, v197                              // 0000000087C8: 0B8B8B19
	v_mul_f32_e32 v198, v25, v198                              // 0000000087CC: 0B8D8D19
	v_mul_f32_e32 v199, v25, v199                              // 0000000087D0: 0B8F8F19
	v_mul_f32_dpp v196, v12, v196 row_newbcast:12 row_mask:0xf bank_mask:0xf// 0000000087D4: 0B8988FA FF015C0C
	v_mul_f32_dpp v197, v12, v197 row_newbcast:13 row_mask:0xf bank_mask:0xf// 0000000087DC: 0B8B8AFA FF015D0C
	v_mul_f32_dpp v198, v12, v198 row_newbcast:14 row_mask:0xf bank_mask:0xf// 0000000087E4: 0B8D8CFA FF015E0C
	v_mul_f32_dpp v199, v12, v199 row_newbcast:15 row_mask:0xf bank_mask:0xf// 0000000087EC: 0B8F8EFA FF015F0C
	v_mul_f32_e32 v196, v21, v196                              // 0000000087F4: 0B898915
	v_mul_f32_e32 v197, v21, v197                              // 0000000087F8: 0B8B8B15
	v_mul_f32_e32 v198, v21, v198                              // 0000000087FC: 0B8D8D15
	v_mul_f32_e32 v199, v21, v199                              // 000000008800: 0B8F8F15
	v_cmp_u_f32_e64 s[48:49], v168, v168                       // 000000008804: D0480030 000351A8
	v_add3_u32 v43, v168, v46, 1                               // 00000000880C: D1FF002B 02065DA8
	v_cndmask_b32_e64 v48, v43, v45, s[48:49]                  // 000000008814: D1000030 00C25B2B
	v_cmp_u_f32_e64 s[48:49], v169, v169                       // 00000000881C: D0480030 000353A9
	v_add3_u32 v43, v169, v46, 1                               // 000000008824: D1FF002B 02065DA9
	v_cndmask_b32_e64 v49, v43, v45, s[48:49]                  // 00000000882C: D1000031 00C25B2B
	v_perm_b32 v168, v49, v48, s52                             // 000000008834: D1ED00A8 00D26131
	v_cmp_u_f32_e64 s[48:49], v170, v170                       // 00000000883C: D0480030 000355AA
	v_add3_u32 v43, v170, v46, 1                               // 000000008844: D1FF002B 02065DAA
	v_cndmask_b32_e64 v48, v43, v45, s[48:49]                  // 00000000884C: D1000030 00C25B2B
	v_cmp_u_f32_e64 s[48:49], v171, v171                       // 000000008854: D0480030 000357AB
	v_add3_u32 v43, v171, v46, 1                               // 00000000885C: D1FF002B 02065DAB
	v_cndmask_b32_e64 v49, v43, v45, s[48:49]                  // 000000008864: D1000031 00C25B2B
	v_perm_b32 v169, v49, v48, s52                             // 00000000886C: D1ED00A9 00D26131
	v_cmp_u_f32_e64 s[48:49], v172, v172                       // 000000008874: D0480030 000359AC
	v_add3_u32 v43, v172, v46, 1                               // 00000000887C: D1FF002B 02065DAC
	v_cndmask_b32_e64 v48, v43, v45, s[48:49]                  // 000000008884: D1000030 00C25B2B
	v_cmp_u_f32_e64 s[48:49], v173, v173                       // 00000000888C: D0480030 00035BAD
	v_add3_u32 v43, v173, v46, 1                               // 000000008894: D1FF002B 02065DAD
	v_cndmask_b32_e64 v49, v43, v45, s[48:49]                  // 00000000889C: D1000031 00C25B2B
	v_perm_b32 v170, v49, v48, s52                             // 0000000088A4: D1ED00AA 00D26131
	v_cmp_u_f32_e64 s[48:49], v174, v174                       // 0000000088AC: D0480030 00035DAE
	v_add3_u32 v43, v174, v46, 1                               // 0000000088B4: D1FF002B 02065DAE
	v_cndmask_b32_e64 v48, v43, v45, s[48:49]                  // 0000000088BC: D1000030 00C25B2B
	v_cmp_u_f32_e64 s[48:49], v175, v175                       // 0000000088C4: D0480030 00035FAF
	v_add3_u32 v43, v175, v46, 1                               // 0000000088CC: D1FF002B 02065DAF
	v_cndmask_b32_e64 v49, v43, v45, s[48:49]                  // 0000000088D4: D1000031 00C25B2B
	v_perm_b32 v171, v49, v48, s52                             // 0000000088DC: D1ED00AB 00D26131
	v_cmp_u_f32_e64 s[48:49], v176, v176                       // 0000000088E4: D0480030 000361B0
	v_add3_u32 v43, v176, v46, 1                               // 0000000088EC: D1FF002B 02065DB0
	v_cndmask_b32_e64 v48, v43, v45, s[48:49]                  // 0000000088F4: D1000030 00C25B2B
	v_cmp_u_f32_e64 s[48:49], v177, v177                       // 0000000088FC: D0480030 000363B1
	v_add3_u32 v43, v177, v46, 1                               // 000000008904: D1FF002B 02065DB1
	v_cndmask_b32_e64 v49, v43, v45, s[48:49]                  // 00000000890C: D1000031 00C25B2B
	v_perm_b32 v172, v49, v48, s52                             // 000000008914: D1ED00AC 00D26131
	v_cmp_u_f32_e64 s[48:49], v178, v178                       // 00000000891C: D0480030 000365B2
	v_add3_u32 v43, v178, v46, 1                               // 000000008924: D1FF002B 02065DB2
	v_cndmask_b32_e64 v48, v43, v45, s[48:49]                  // 00000000892C: D1000030 00C25B2B
	v_cmp_u_f32_e64 s[48:49], v179, v179                       // 000000008934: D0480030 000367B3
	v_add3_u32 v43, v179, v46, 1                               // 00000000893C: D1FF002B 02065DB3
	v_cndmask_b32_e64 v49, v43, v45, s[48:49]                  // 000000008944: D1000031 00C25B2B
	v_perm_b32 v173, v49, v48, s52                             // 00000000894C: D1ED00AD 00D26131
	v_cmp_u_f32_e64 s[48:49], v180, v180                       // 000000008954: D0480030 000369B4
	v_add3_u32 v43, v180, v46, 1                               // 00000000895C: D1FF002B 02065DB4
	v_cndmask_b32_e64 v48, v43, v45, s[48:49]                  // 000000008964: D1000030 00C25B2B
	v_cmp_u_f32_e64 s[48:49], v181, v181                       // 00000000896C: D0480030 00036BB5
	v_add3_u32 v43, v181, v46, 1                               // 000000008974: D1FF002B 02065DB5
	v_cndmask_b32_e64 v49, v43, v45, s[48:49]                  // 00000000897C: D1000031 00C25B2B
	v_perm_b32 v174, v49, v48, s52                             // 000000008984: D1ED00AE 00D26131
	v_cmp_u_f32_e64 s[48:49], v182, v182                       // 00000000898C: D0480030 00036DB6
	v_add3_u32 v43, v182, v46, 1                               // 000000008994: D1FF002B 02065DB6
	v_cndmask_b32_e64 v48, v43, v45, s[48:49]                  // 00000000899C: D1000030 00C25B2B
	v_cmp_u_f32_e64 s[48:49], v183, v183                       // 0000000089A4: D0480030 00036FB7
	v_add3_u32 v43, v183, v46, 1                               // 0000000089AC: D1FF002B 02065DB7
	v_cndmask_b32_e64 v49, v43, v45, s[48:49]                  // 0000000089B4: D1000031 00C25B2B
	v_perm_b32 v175, v49, v48, s52                             // 0000000089BC: D1ED00AF 00D26131
	v_cmp_u_f32_e64 s[48:49], v184, v184                       // 0000000089C4: D0480030 000371B8
	v_add3_u32 v43, v184, v46, 1                               // 0000000089CC: D1FF002B 02065DB8
	v_cndmask_b32_e64 v48, v43, v45, s[48:49]                  // 0000000089D4: D1000030 00C25B2B
	v_cmp_u_f32_e64 s[48:49], v185, v185                       // 0000000089DC: D0480030 000373B9
	v_add3_u32 v43, v185, v46, 1                               // 0000000089E4: D1FF002B 02065DB9
	v_cndmask_b32_e64 v49, v43, v45, s[48:49]                  // 0000000089EC: D1000031 00C25B2B
	v_perm_b32 v176, v49, v48, s52                             // 0000000089F4: D1ED00B0 00D26131
	v_cmp_u_f32_e64 s[48:49], v186, v186                       // 0000000089FC: D0480030 000375BA
	v_add3_u32 v43, v186, v46, 1                               // 000000008A04: D1FF002B 02065DBA
	v_cndmask_b32_e64 v48, v43, v45, s[48:49]                  // 000000008A0C: D1000030 00C25B2B
	v_cmp_u_f32_e64 s[48:49], v187, v187                       // 000000008A14: D0480030 000377BB
	v_add3_u32 v43, v187, v46, 1                               // 000000008A1C: D1FF002B 02065DBB
	v_cndmask_b32_e64 v49, v43, v45, s[48:49]                  // 000000008A24: D1000031 00C25B2B
	v_perm_b32 v177, v49, v48, s52                             // 000000008A2C: D1ED00B1 00D26131
	v_cmp_u_f32_e64 s[48:49], v188, v188                       // 000000008A34: D0480030 000379BC
	v_add3_u32 v43, v188, v46, 1                               // 000000008A3C: D1FF002B 02065DBC
	v_cndmask_b32_e64 v48, v43, v45, s[48:49]                  // 000000008A44: D1000030 00C25B2B
	v_cmp_u_f32_e64 s[48:49], v189, v189                       // 000000008A4C: D0480030 00037BBD
	v_add3_u32 v43, v189, v46, 1                               // 000000008A54: D1FF002B 02065DBD
	v_cndmask_b32_e64 v49, v43, v45, s[48:49]                  // 000000008A5C: D1000031 00C25B2B
	v_perm_b32 v178, v49, v48, s52                             // 000000008A64: D1ED00B2 00D26131
	v_cmp_u_f32_e64 s[48:49], v190, v190                       // 000000008A6C: D0480030 00037DBE
	v_add3_u32 v43, v190, v46, 1                               // 000000008A74: D1FF002B 02065DBE
	v_cndmask_b32_e64 v48, v43, v45, s[48:49]                  // 000000008A7C: D1000030 00C25B2B
	v_cmp_u_f32_e64 s[48:49], v191, v191                       // 000000008A84: D0480030 00037FBF
	v_add3_u32 v43, v191, v46, 1                               // 000000008A8C: D1FF002B 02065DBF
	v_cndmask_b32_e64 v49, v43, v45, s[48:49]                  // 000000008A94: D1000031 00C25B2B
	v_perm_b32 v179, v49, v48, s52                             // 000000008A9C: D1ED00B3 00D26131
	v_cmp_u_f32_e64 s[48:49], v192, v192                       // 000000008AA4: D0480030 000381C0
	v_add3_u32 v43, v192, v46, 1                               // 000000008AAC: D1FF002B 02065DC0
	v_cndmask_b32_e64 v48, v43, v45, s[48:49]                  // 000000008AB4: D1000030 00C25B2B
	v_cmp_u_f32_e64 s[48:49], v193, v193                       // 000000008ABC: D0480030 000383C1
	v_add3_u32 v43, v193, v46, 1                               // 000000008AC4: D1FF002B 02065DC1
	v_cndmask_b32_e64 v49, v43, v45, s[48:49]                  // 000000008ACC: D1000031 00C25B2B
	v_perm_b32 v180, v49, v48, s52                             // 000000008AD4: D1ED00B4 00D26131
	v_cmp_u_f32_e64 s[48:49], v194, v194                       // 000000008ADC: D0480030 000385C2
	v_add3_u32 v43, v194, v46, 1                               // 000000008AE4: D1FF002B 02065DC2
	v_cndmask_b32_e64 v48, v43, v45, s[48:49]                  // 000000008AEC: D1000030 00C25B2B
	v_cmp_u_f32_e64 s[48:49], v195, v195                       // 000000008AF4: D0480030 000387C3
	v_add3_u32 v43, v195, v46, 1                               // 000000008AFC: D1FF002B 02065DC3
	v_cndmask_b32_e64 v49, v43, v45, s[48:49]                  // 000000008B04: D1000031 00C25B2B
	v_perm_b32 v181, v49, v48, s52                             // 000000008B0C: D1ED00B5 00D26131
	v_cmp_u_f32_e64 s[48:49], v196, v196                       // 000000008B14: D0480030 000389C4
	v_add3_u32 v43, v196, v46, 1                               // 000000008B1C: D1FF002B 02065DC4
	v_cndmask_b32_e64 v48, v43, v45, s[48:49]                  // 000000008B24: D1000030 00C25B2B
	v_cmp_u_f32_e64 s[48:49], v197, v197                       // 000000008B2C: D0480030 00038BC5
	v_add3_u32 v43, v197, v46, 1                               // 000000008B34: D1FF002B 02065DC5
	v_cndmask_b32_e64 v49, v43, v45, s[48:49]                  // 000000008B3C: D1000031 00C25B2B
	v_perm_b32 v182, v49, v48, s52                             // 000000008B44: D1ED00B6 00D26131
	v_cmp_u_f32_e64 s[48:49], v198, v198                       // 000000008B4C: D0480030 00038DC6
	v_add3_u32 v43, v198, v46, 1                               // 000000008B54: D1FF002B 02065DC6
	v_cndmask_b32_e64 v48, v43, v45, s[48:49]                  // 000000008B5C: D1000030 00C25B2B
	v_cmp_u_f32_e64 s[48:49], v199, v199                       // 000000008B64: D0480030 00038FC7
	v_add3_u32 v43, v199, v46, 1                               // 000000008B6C: D1FF002B 02065DC7
	v_cndmask_b32_e64 v49, v43, v45, s[48:49]                  // 000000008B74: D1000031 00C25B2B
	v_perm_b32 v183, v49, v48, s52                             // 000000008B7C: D1ED00B7 00D26131
	ds_write_b64 v3, v[168:169] offset:28928                   // 000000008B84: D89A7100 0000A803
	ds_write_b64 v3, v[170:171] offset:37632                   // 000000008B8C: D89A9300 0000AA03
	ds_write_b64 v3, v[172:173] offset:31104                   // 000000008B94: D89A7980 0000AC03
	ds_write_b64 v3, v[174:175] offset:39808                   // 000000008B9C: D89A9B80 0000AE03
	ds_write_b64 v3, v[176:177] offset:33280                   // 000000008BA4: D89A8200 0000B003
	ds_write_b64 v3, v[178:179] offset:41984                   // 000000008BAC: D89AA400 0000B203
	ds_write_b64 v3, v[180:181] offset:35456                   // 000000008BB4: D89A8A80 0000B403
	ds_write_b64 v3, v[182:183] offset:44160                   // 000000008BBC: D89AAC80 0000B603
	s_waitcnt lgkmcnt(0)                                       // 000000008BC4: BF8CC07F
	s_barrier                                                  // 000000008BC8: BF8A0000
	ds_read_b32 v64, v4 offset:28928                           // 000000008BCC: D86C7100 40000004
	ds_read_b32 v65, v4 offset:33280                           // 000000008BD4: D86C8200 41000004
	ds_read_b32 v66, v4 offset:28960                           // 000000008BDC: D86C7120 42000004
	ds_read_b32 v67, v4 offset:33312                           // 000000008BE4: D86C8220 43000004
	ds_read_b32 v68, v4 offset:28992                           // 000000008BEC: D86C7140 44000004
	ds_read_b32 v69, v4 offset:33344                           // 000000008BF4: D86C8240 45000004
	ds_read_b32 v70, v4 offset:29024                           // 000000008BFC: D86C7160 46000004
	ds_read_b32 v71, v4 offset:33376                           // 000000008C04: D86C8260 47000004
	ds_read_b32 v72, v4 offset:37632                           // 000000008C0C: D86C9300 48000004
	ds_read_b32 v73, v4 offset:41984                           // 000000008C14: D86CA400 49000004
	ds_read_b32 v74, v4 offset:37664                           // 000000008C1C: D86C9320 4A000004
	ds_read_b32 v75, v4 offset:42016                           // 000000008C24: D86CA420 4B000004
	ds_read_b32 v76, v4 offset:37696                           // 000000008C2C: D86C9340 4C000004
	ds_read_b32 v77, v4 offset:42048                           // 000000008C34: D86CA440 4D000004
	ds_read_b32 v78, v4 offset:37728                           // 000000008C3C: D86C9360 4E000004
	ds_read_b32 v79, v4 offset:42080                           // 000000008C44: D86CA460 4F000004
	s_waitcnt lgkmcnt(0)                                       // 000000008C4C: BF8CC07F
	s_mov_b64 exec, s[20:21]                                   // 000000008C50: BEFE0114
	global_atomic_pk_add_bf16 v80, v64, s[8:9]                 // 000000008C54: DD488000 00084050
	s_mov_b64 exec, s[36:37]                                   // 000000008C5C: BEFE0124
	s_mov_b64 exec, s[20:21]                                   // 000000008C60: BEFE0114
	global_atomic_pk_add_bf16 v80, v65, s[8:9] offset:256      // 000000008C64: DD488100 00084150
	s_mov_b64 exec, s[36:37]                                   // 000000008C6C: BEFE0124
	s_mov_b64 exec, s[22:23]                                   // 000000008C70: BEFE0116
	global_atomic_pk_add_bf16 v82, v66, s[8:9]                 // 000000008C74: DD488000 00084252
	s_mov_b64 exec, s[36:37]                                   // 000000008C7C: BEFE0124
	s_mov_b64 exec, s[22:23]                                   // 000000008C80: BEFE0116
	global_atomic_pk_add_bf16 v82, v67, s[8:9] offset:256      // 000000008C84: DD488100 00084352
	s_mov_b64 exec, s[36:37]                                   // 000000008C8C: BEFE0124
	s_mov_b64 exec, s[24:25]                                   // 000000008C90: BEFE0118
	global_atomic_pk_add_bf16 v84, v68, s[8:9]                 // 000000008C94: DD488000 00084454
	s_mov_b64 exec, s[36:37]                                   // 000000008C9C: BEFE0124
	s_mov_b64 exec, s[24:25]                                   // 000000008CA0: BEFE0118
	global_atomic_pk_add_bf16 v84, v69, s[8:9] offset:256      // 000000008CA4: DD488100 00084554
	s_mov_b64 exec, s[36:37]                                   // 000000008CAC: BEFE0124
	s_mov_b64 exec, s[26:27]                                   // 000000008CB0: BEFE011A
	global_atomic_pk_add_bf16 v86, v70, s[8:9]                 // 000000008CB4: DD488000 00084656
	s_mov_b64 exec, s[36:37]                                   // 000000008CBC: BEFE0124
	s_mov_b64 exec, s[26:27]                                   // 000000008CC0: BEFE011A
	global_atomic_pk_add_bf16 v86, v71, s[8:9] offset:256      // 000000008CC4: DD488100 00084756
	s_mov_b64 exec, s[36:37]                                   // 000000008CCC: BEFE0124
	s_mov_b64 exec, s[28:29]                                   // 000000008CD0: BEFE011C
	global_atomic_pk_add_bf16 v88, v72, s[8:9]                 // 000000008CD4: DD488000 00084858
	s_mov_b64 exec, s[36:37]                                   // 000000008CDC: BEFE0124
	s_mov_b64 exec, s[28:29]                                   // 000000008CE0: BEFE011C
	global_atomic_pk_add_bf16 v88, v73, s[8:9] offset:256      // 000000008CE4: DD488100 00084958
	s_mov_b64 exec, s[36:37]                                   // 000000008CEC: BEFE0124
	s_mov_b64 exec, s[30:31]                                   // 000000008CF0: BEFE011E
	global_atomic_pk_add_bf16 v90, v74, s[8:9]                 // 000000008CF4: DD488000 00084A5A
	s_mov_b64 exec, s[36:37]                                   // 000000008CFC: BEFE0124
	s_mov_b64 exec, s[30:31]                                   // 000000008D00: BEFE011E
	global_atomic_pk_add_bf16 v90, v75, s[8:9] offset:256      // 000000008D04: DD488100 00084B5A
	s_mov_b64 exec, s[36:37]                                   // 000000008D0C: BEFE0124
	s_mov_b64 exec, s[32:33]                                   // 000000008D10: BEFE0120
	global_atomic_pk_add_bf16 v92, v76, s[8:9]                 // 000000008D14: DD488000 00084C5C
	s_mov_b64 exec, s[36:37]                                   // 000000008D1C: BEFE0124
	s_mov_b64 exec, s[32:33]                                   // 000000008D20: BEFE0120
	global_atomic_pk_add_bf16 v92, v77, s[8:9] offset:256      // 000000008D24: DD488100 00084D5C
	s_mov_b64 exec, s[36:37]                                   // 000000008D2C: BEFE0124
	s_mov_b64 exec, s[34:35]                                   // 000000008D30: BEFE0122
	global_atomic_pk_add_bf16 v94, v78, s[8:9]                 // 000000008D34: DD488000 00084E5E
	s_mov_b64 exec, s[36:37]                                   // 000000008D3C: BEFE0124
	s_mov_b64 exec, s[34:35]                                   // 000000008D40: BEFE0122
	global_atomic_pk_add_bf16 v94, v79, s[8:9] offset:256      // 000000008D44: DD488100 00084F5E
	s_mov_b64 exec, s[36:37]                                   // 000000008D4C: BEFE0124
	s_add_u32 s8, s59, s8                                      // 000000008D50: 8008083B
	s_addc_u32 s9, 0, s9                                       // 000000008D54: 82090980
	s_addk_i32 s80, 0x100                                      // 000000008D58: B7500100
	s_cmp_lt_i32 s80, s81                                      // 000000008D5C: BF045150
	s_cbranch_scc0 label_0E91                                  // 000000008D60: BF84F6B8
	s_waitcnt vmcnt(33)                                        // 000000008D64: BF8C8F71
	s_barrier                                                  // 000000008D68: BF8A0000
	v_mfma_i32_16x16x32_i8 v[200:203], a[80:81], v[128:129], 0 // 000000008D6C: D3D700C8 0A030150
	buffer_load_dwordx4 a[0:3], v39, s[12:15], 0 offen         // 000000008D74: E05C1000 80830027
	v_mfma_i32_16x16x32_i8 v[200:203], a[82:83], v[130:131], v[200:203]// 000000008D7C: D3D700C8 0F230552
	v_mfma_i32_16x16x32_i8 v[204:207], a[80:81], v[148:149], 0 // 000000008D84: D3D700CC 0A032950
	v_mfma_i32_16x16x32_i8 v[204:207], a[82:83], v[150:151], v[204:207]// 000000008D8C: D3D700CC 0F332D52
	v_mfma_i32_16x16x32_i8 v[208:211], a[84:85], v[128:129], 0 // 000000008D94: D3D700D0 0A030154
	buffer_load_dwordx4 a[4:7], v40, s[12:15], 0 offen         // 000000008D9C: E05C1000 80830428
	v_mfma_i32_16x16x32_i8 v[208:211], a[86:87], v[130:131], v[208:211]// 000000008DA4: D3D700D0 0F430556
	v_mfma_i32_16x16x32_i8 v[212:215], a[84:85], v[148:149], 0 // 000000008DAC: D3D700D4 0A032954
	v_mfma_i32_16x16x32_i8 v[212:215], a[86:87], v[150:151], v[212:215]// 000000008DB4: D3D700D4 0F532D56
	v_mfma_i32_16x16x32_i8 v[216:219], a[88:89], v[128:129], 0 // 000000008DBC: D3D700D8 0A030158
	buffer_load_dwordx4 a[8:11], v41, s[12:15], 0 offen        // 000000008DC4: E05C1000 80830829
	v_mfma_i32_16x16x32_i8 v[216:219], a[90:91], v[130:131], v[216:219]// 000000008DCC: D3D700D8 0F63055A
	v_mfma_i32_16x16x32_i8 v[220:223], a[88:89], v[148:149], 0 // 000000008DD4: D3D700DC 0A032958
	v_mfma_i32_16x16x32_i8 v[220:223], a[90:91], v[150:151], v[220:223]// 000000008DDC: D3D700DC 0F732D5A
	v_mfma_i32_16x16x32_i8 v[224:227], a[92:93], v[128:129], 0 // 000000008DE4: D3D700E0 0A03015C
	buffer_load_dwordx4 a[12:15], v42, s[12:15], 0 offen       // 000000008DEC: E05C1000 80830C2A
	s_add_u32 s12, s78, s12                                    // 000000008DF4: 800C0C4E
	s_addc_u32 s13, 0, s13                                     // 000000008DF8: 820D0D80
	v_mfma_i32_16x16x32_i8 v[224:227], a[94:95], v[130:131], v[224:227]// 000000008DFC: D3D700E0 0F83055E
	v_mfma_i32_16x16x32_i8 v[228:231], a[92:93], v[148:149], 0 // 000000008E04: D3D700E4 0A03295C
	v_mfma_i32_16x16x32_i8 v[228:231], a[94:95], v[150:151], v[228:231]// 000000008E0C: D3D700E4 0F932D5E
	s_waitcnt vmcnt(33)                                        // 000000008E14: BF8C8F71
	v_mfma_i32_16x16x32_i8 v[200:203], a[96:97], v[132:133], v[200:203]// 000000008E18: D3D700C8 0F230960
	buffer_load_dwordx4 a[16:19], v39, s[12:15], 0 offen       // 000000008E20: E05C1000 80831027
	v_mfma_i32_16x16x32_i8 v[200:203], a[98:99], v[134:135], v[200:203]// 000000008E28: D3D700C8 0F230D62
	v_mfma_i32_16x16x32_i8 v[204:207], a[96:97], v[152:153], v[204:207]// 000000008E30: D3D700CC 0F333160
	v_mfma_i32_16x16x32_i8 v[204:207], a[98:99], v[154:155], v[204:207]// 000000008E38: D3D700CC 0F333562
	v_mfma_i32_16x16x32_i8 v[208:211], a[100:101], v[132:133], v[208:211]// 000000008E40: D3D700D0 0F430964
	buffer_load_dwordx4 a[20:23], v40, s[12:15], 0 offen       // 000000008E48: E05C1000 80831428
	v_mfma_i32_16x16x32_i8 v[208:211], a[102:103], v[134:135], v[208:211]// 000000008E50: D3D700D0 0F430D66
	v_mfma_i32_16x16x32_i8 v[212:215], a[100:101], v[152:153], v[212:215]// 000000008E58: D3D700D4 0F533164
	v_mfma_i32_16x16x32_i8 v[212:215], a[102:103], v[154:155], v[212:215]// 000000008E60: D3D700D4 0F533566
	v_mfma_i32_16x16x32_i8 v[216:219], a[104:105], v[132:133], v[216:219]// 000000008E68: D3D700D8 0F630968
	buffer_load_dwordx4 a[24:27], v41, s[12:15], 0 offen       // 000000008E70: E05C1000 80831829
	v_mfma_i32_16x16x32_i8 v[216:219], a[106:107], v[134:135], v[216:219]// 000000008E78: D3D700D8 0F630D6A
	v_mfma_i32_16x16x32_i8 v[220:223], a[104:105], v[152:153], v[220:223]// 000000008E80: D3D700DC 0F733168
	v_mfma_i32_16x16x32_i8 v[220:223], a[106:107], v[154:155], v[220:223]// 000000008E88: D3D700DC 0F73356A
	v_mfma_i32_16x16x32_i8 v[224:227], a[108:109], v[132:133], v[224:227]// 000000008E90: D3D700E0 0F83096C
	buffer_load_dwordx4 a[28:31], v42, s[12:15], 0 offen       // 000000008E98: E05C1000 80831C2A
	s_add_u32 s12, s78, s12                                    // 000000008EA0: 800C0C4E
	s_addc_u32 s13, 0, s13                                     // 000000008EA4: 820D0D80
	v_mfma_i32_16x16x32_i8 v[224:227], a[110:111], v[134:135], v[224:227]// 000000008EA8: D3D700E0 0F830D6E
	v_mfma_i32_16x16x32_i8 v[228:231], a[108:109], v[152:153], v[228:231]// 000000008EB0: D3D700E4 0F93316C
	v_mfma_i32_16x16x32_i8 v[228:231], a[110:111], v[154:155], v[228:231]// 000000008EB8: D3D700E4 0F93356E
	s_waitcnt vmcnt(33)                                        // 000000008EC0: BF8C8F71
	v_mfma_i32_16x16x32_i8 v[200:203], a[112:113], v[136:137], v[200:203]// 000000008EC4: D3D700C8 0F231170
	buffer_load_dwordx4 a[32:35], v39, s[12:15], 0 offen       // 000000008ECC: E05C1000 80832027
	v_mfma_i32_16x16x32_i8 v[200:203], a[114:115], v[138:139], v[200:203]// 000000008ED4: D3D700C8 0F231572
	v_mfma_i32_16x16x32_i8 v[204:207], a[112:113], v[156:157], v[204:207]// 000000008EDC: D3D700CC 0F333970
	v_mfma_i32_16x16x32_i8 v[204:207], a[114:115], v[158:159], v[204:207]// 000000008EE4: D3D700CC 0F333D72
	v_mfma_i32_16x16x32_i8 v[208:211], a[116:117], v[136:137], v[208:211]// 000000008EEC: D3D700D0 0F431174
	buffer_load_dwordx4 a[36:39], v40, s[12:15], 0 offen       // 000000008EF4: E05C1000 80832428
	v_mfma_i32_16x16x32_i8 v[208:211], a[118:119], v[138:139], v[208:211]// 000000008EFC: D3D700D0 0F431576
	v_mfma_i32_16x16x32_i8 v[212:215], a[116:117], v[156:157], v[212:215]// 000000008F04: D3D700D4 0F533974
	v_mfma_i32_16x16x32_i8 v[212:215], a[118:119], v[158:159], v[212:215]// 000000008F0C: D3D700D4 0F533D76
	v_mfma_i32_16x16x32_i8 v[216:219], a[120:121], v[136:137], v[216:219]// 000000008F14: D3D700D8 0F631178
	buffer_load_dwordx4 a[40:43], v41, s[12:15], 0 offen       // 000000008F1C: E05C1000 80832829
	v_mfma_i32_16x16x32_i8 v[216:219], a[122:123], v[138:139], v[216:219]// 000000008F24: D3D700D8 0F63157A
	v_mfma_i32_16x16x32_i8 v[220:223], a[120:121], v[156:157], v[220:223]// 000000008F2C: D3D700DC 0F733978
	v_mfma_i32_16x16x32_i8 v[220:223], a[122:123], v[158:159], v[220:223]// 000000008F34: D3D700DC 0F733D7A
	v_mfma_i32_16x16x32_i8 v[224:227], a[124:125], v[136:137], v[224:227]// 000000008F3C: D3D700E0 0F83117C
	buffer_load_dwordx4 a[44:47], v42, s[12:15], 0 offen       // 000000008F44: E05C1000 80832C2A
	s_add_u32 s12, s78, s12                                    // 000000008F4C: 800C0C4E
	s_addc_u32 s13, 0, s13                                     // 000000008F50: 820D0D80
	v_mfma_i32_16x16x32_i8 v[224:227], a[126:127], v[138:139], v[224:227]// 000000008F54: D3D700E0 0F83157E
	v_mfma_i32_16x16x32_i8 v[228:231], a[124:125], v[156:157], v[228:231]// 000000008F5C: D3D700E4 0F93397C
	v_mfma_i32_16x16x32_i8 v[228:231], a[126:127], v[158:159], v[228:231]// 000000008F64: D3D700E4 0F933D7E
	s_waitcnt vmcnt(33)                                        // 000000008F6C: BF8C8F71
	v_mfma_i32_16x16x32_i8 v[200:203], a[128:129], v[140:141], v[200:203]// 000000008F70: D3D700C8 0F231980
	buffer_load_dwordx4 a[48:51], v39, s[12:15], 0 offen       // 000000008F78: E05C1000 80833027
	v_mfma_i32_16x16x32_i8 v[200:203], a[130:131], v[142:143], v[200:203]// 000000008F80: D3D700C8 0F231D82
	v_mfma_i32_16x16x32_i8 v[204:207], a[128:129], v[160:161], v[204:207]// 000000008F88: D3D700CC 0F334180
	v_mfma_i32_16x16x32_i8 v[204:207], a[130:131], v[162:163], v[204:207]// 000000008F90: D3D700CC 0F334582
	v_mfma_i32_16x16x32_i8 v[208:211], a[132:133], v[140:141], v[208:211]// 000000008F98: D3D700D0 0F431984
	buffer_load_dwordx4 a[52:55], v40, s[12:15], 0 offen       // 000000008FA0: E05C1000 80833428
	v_mfma_i32_16x16x32_i8 v[208:211], a[134:135], v[142:143], v[208:211]// 000000008FA8: D3D700D0 0F431D86
	v_mfma_i32_16x16x32_i8 v[212:215], a[132:133], v[160:161], v[212:215]// 000000008FB0: D3D700D4 0F534184
	v_mfma_i32_16x16x32_i8 v[212:215], a[134:135], v[162:163], v[212:215]// 000000008FB8: D3D700D4 0F534586
	v_mfma_i32_16x16x32_i8 v[216:219], a[136:137], v[140:141], v[216:219]// 000000008FC0: D3D700D8 0F631988
	buffer_load_dwordx4 a[56:59], v41, s[12:15], 0 offen       // 000000008FC8: E05C1000 80833829
	v_mfma_i32_16x16x32_i8 v[216:219], a[138:139], v[142:143], v[216:219]// 000000008FD0: D3D700D8 0F631D8A
	v_mfma_i32_16x16x32_i8 v[220:223], a[136:137], v[160:161], v[220:223]// 000000008FD8: D3D700DC 0F734188
	v_mfma_i32_16x16x32_i8 v[220:223], a[138:139], v[162:163], v[220:223]// 000000008FE0: D3D700DC 0F73458A
	v_mfma_i32_16x16x32_i8 v[224:227], a[140:141], v[140:141], v[224:227]// 000000008FE8: D3D700E0 0F83198C
	buffer_load_dwordx4 a[60:63], v42, s[12:15], 0 offen       // 000000008FF0: E05C1000 80833C2A
	s_add_u32 s12, s78, s12                                    // 000000008FF8: 800C0C4E
	s_addc_u32 s13, 0, s13                                     // 000000008FFC: 820D0D80
	v_mfma_i32_16x16x32_i8 v[224:227], a[142:143], v[142:143], v[224:227]// 000000009000: D3D700E0 0F831D8E
	v_mfma_i32_16x16x32_i8 v[228:231], a[140:141], v[160:161], v[228:231]// 000000009008: D3D700E4 0F93418C
	v_mfma_i32_16x16x32_i8 v[228:231], a[142:143], v[162:163], v[228:231]// 000000009010: D3D700E4 0F93458E
	s_waitcnt vmcnt(32)                                        // 000000009018: BF8C8F70
	v_mfma_i32_16x16x32_i8 v[200:203], a[144:145], v[144:145], v[200:203]// 00000000901C: D3D700C8 0F232190
	buffer_load_dwordx4 a[64:67], v39, s[12:15], 0 offen       // 000000009024: E05C1000 80834027
	v_mfma_i32_16x16x32_i8 v[200:203], a[146:147], v[146:147], v[200:203]// 00000000902C: D3D700C8 0F232592
	v_mfma_i32_16x16x32_i8 v[204:207], a[144:145], v[164:165], v[204:207]// 000000009034: D3D700CC 0F334990
	buffer_load_dword v12, v5, s[16:19], 0 offen               // 00000000903C: E0501000 80040C05
	v_mfma_i32_16x16x32_i8 v[204:207], a[146:147], v[166:167], v[204:207]// 000000009044: D3D700CC 0F334D92
	v_mfma_i32_16x16x32_i8 v[208:211], a[148:149], v[144:145], v[208:211]// 00000000904C: D3D700D0 0F432194
	buffer_load_dwordx4 a[68:71], v40, s[12:15], 0 offen       // 000000009054: E05C1000 80834428
	v_mfma_i32_16x16x32_i8 v[208:211], a[150:151], v[146:147], v[208:211]// 00000000905C: D3D700D0 0F432596
	v_mfma_i32_16x16x32_i8 v[212:215], a[148:149], v[164:165], v[212:215]// 000000009064: D3D700D4 0F534994
	v_mfma_i32_16x16x32_i8 v[212:215], a[150:151], v[166:167], v[212:215]// 00000000906C: D3D700D4 0F534D96
	v_mfma_i32_16x16x32_i8 v[216:219], a[152:153], v[144:145], v[216:219]// 000000009074: D3D700D8 0F632198
	buffer_load_dwordx4 a[72:75], v41, s[12:15], 0 offen       // 00000000907C: E05C1000 80834829
	v_mfma_i32_16x16x32_i8 v[216:219], a[154:155], v[146:147], v[216:219]// 000000009084: D3D700D8 0F63259A
	v_mfma_i32_16x16x32_i8 v[220:223], a[152:153], v[164:165], v[220:223]// 00000000908C: D3D700DC 0F734998
	v_mfma_i32_16x16x32_i8 v[220:223], a[154:155], v[166:167], v[220:223]// 000000009094: D3D700DC 0F734D9A
	v_mfma_i32_16x16x32_i8 v[224:227], a[156:157], v[144:145], v[224:227]// 00000000909C: D3D700E0 0F83219C
	buffer_load_dwordx4 a[76:79], v42, s[12:15], 0 offen       // 0000000090A4: E05C1000 80834C2A
	v_mfma_i32_16x16x32_i8 v[224:227], a[158:159], v[146:147], v[224:227]// 0000000090AC: D3D700E0 0F83259E
	v_mfma_i32_16x16x32_i8 v[228:231], a[156:157], v[164:165], v[228:231]// 0000000090B4: D3D700E4 0F93499C
	v_mfma_i32_16x16x32_i8 v[228:231], a[158:159], v[166:167], v[228:231]// 0000000090BC: D3D700E4 0F934D9E
	s_add_u32 s60, 0x200, s80                                  // 0000000090C4: 803C50FF 00000200
	s_cmp_lt_u32 s60, s81                                      // 0000000090CC: BF0A513C
	s_cselect_b32 s56, s56, 0                                  // 0000000090D0: 85388038
	s_cselect_b32 s78, s78, 0                                  // 0000000090D4: 854E804E
	s_cselect_b32 s79, s79, 0                                  // 0000000090D8: 854F804F
	s_add_u32 s12, s56, s12                                    // 0000000090DC: 800C0C38
	s_addc_u32 s13, 0, s13                                     // 0000000090E0: 820D0D80
	s_add_u32 s16, s79, s16                                    // 0000000090E4: 8010104F
	s_addc_u32 s17, 0, s17                                     // 0000000090E8: 82111180
	v_cvt_f32_i32_e32 v200, v200                               // 0000000090EC: 7F900BC8
	v_cvt_f32_i32_e32 v201, v201                               // 0000000090F0: 7F920BC9
	v_cvt_f32_i32_e32 v202, v202                               // 0000000090F4: 7F940BCA
	v_cvt_f32_i32_e32 v203, v203                               // 0000000090F8: 7F960BCB
	v_mul_f32_e32 v200, v24, v200                              // 0000000090FC: 0B919118
	v_mul_f32_e32 v201, v24, v201                              // 000000009100: 0B939318
	v_mul_f32_e32 v202, v24, v202                              // 000000009104: 0B959518
	v_mul_f32_e32 v203, v24, v203                              // 000000009108: 0B979718
	v_mul_f32_dpp v200, v13, v200 row_newbcast:0 row_mask:0xf bank_mask:0xf// 00000000910C: 0B9190FA FF01500D
	v_mul_f32_dpp v201, v13, v201 row_newbcast:1 row_mask:0xf bank_mask:0xf// 000000009114: 0B9392FA FF01510D
	v_mul_f32_dpp v202, v13, v202 row_newbcast:2 row_mask:0xf bank_mask:0xf// 00000000911C: 0B9594FA FF01520D
	v_mul_f32_dpp v203, v13, v203 row_newbcast:3 row_mask:0xf bank_mask:0xf// 000000009124: 0B9796FA FF01530D
	v_mul_f32_e32 v200, v20, v200                              // 00000000912C: 0B919114
	v_mul_f32_e32 v201, v20, v201                              // 000000009130: 0B939314
	v_mul_f32_e32 v202, v20, v202                              // 000000009134: 0B959514
	v_mul_f32_e32 v203, v20, v203                              // 000000009138: 0B979714
	v_cvt_f32_i32_e32 v204, v204                               // 00000000913C: 7F980BCC
	v_cvt_f32_i32_e32 v205, v205                               // 000000009140: 7F9A0BCD
	v_cvt_f32_i32_e32 v206, v206                               // 000000009144: 7F9C0BCE
	v_cvt_f32_i32_e32 v207, v207                               // 000000009148: 7F9E0BCF
	v_mul_f32_e32 v204, v25, v204                              // 00000000914C: 0B999919
	v_mul_f32_e32 v205, v25, v205                              // 000000009150: 0B9B9B19
	v_mul_f32_e32 v206, v25, v206                              // 000000009154: 0B9D9D19
	v_mul_f32_e32 v207, v25, v207                              // 000000009158: 0B9F9F19
	v_mul_f32_dpp v204, v13, v204 row_newbcast:0 row_mask:0xf bank_mask:0xf// 00000000915C: 0B9998FA FF01500D
	v_mul_f32_dpp v205, v13, v205 row_newbcast:1 row_mask:0xf bank_mask:0xf// 000000009164: 0B9B9AFA FF01510D
	v_mul_f32_dpp v206, v13, v206 row_newbcast:2 row_mask:0xf bank_mask:0xf// 00000000916C: 0B9D9CFA FF01520D
	v_mul_f32_dpp v207, v13, v207 row_newbcast:3 row_mask:0xf bank_mask:0xf// 000000009174: 0B9F9EFA FF01530D
	v_mul_f32_e32 v204, v21, v204                              // 00000000917C: 0B999915
	v_mul_f32_e32 v205, v21, v205                              // 000000009180: 0B9B9B15
	v_mul_f32_e32 v206, v21, v206                              // 000000009184: 0B9D9D15
	v_mul_f32_e32 v207, v21, v207                              // 000000009188: 0B9F9F15
	v_cvt_f32_i32_e32 v208, v208                               // 00000000918C: 7FA00BD0
	v_cvt_f32_i32_e32 v209, v209                               // 000000009190: 7FA20BD1
	v_cvt_f32_i32_e32 v210, v210                               // 000000009194: 7FA40BD2
	v_cvt_f32_i32_e32 v211, v211                               // 000000009198: 7FA60BD3
	v_mul_f32_e32 v208, v24, v208                              // 00000000919C: 0BA1A118
	v_mul_f32_e32 v209, v24, v209                              // 0000000091A0: 0BA3A318
	v_mul_f32_e32 v210, v24, v210                              // 0000000091A4: 0BA5A518
	v_mul_f32_e32 v211, v24, v211                              // 0000000091A8: 0BA7A718
	v_mul_f32_dpp v208, v13, v208 row_newbcast:4 row_mask:0xf bank_mask:0xf// 0000000091AC: 0BA1A0FA FF01540D
	v_mul_f32_dpp v209, v13, v209 row_newbcast:5 row_mask:0xf bank_mask:0xf// 0000000091B4: 0BA3A2FA FF01550D
	v_mul_f32_dpp v210, v13, v210 row_newbcast:6 row_mask:0xf bank_mask:0xf// 0000000091BC: 0BA5A4FA FF01560D
	v_mul_f32_dpp v211, v13, v211 row_newbcast:7 row_mask:0xf bank_mask:0xf// 0000000091C4: 0BA7A6FA FF01570D
	v_mul_f32_e32 v208, v20, v208                              // 0000000091CC: 0BA1A114
	v_mul_f32_e32 v209, v20, v209                              // 0000000091D0: 0BA3A314
	v_mul_f32_e32 v210, v20, v210                              // 0000000091D4: 0BA5A514
	v_mul_f32_e32 v211, v20, v211                              // 0000000091D8: 0BA7A714
	v_cvt_f32_i32_e32 v212, v212                               // 0000000091DC: 7FA80BD4
	v_cvt_f32_i32_e32 v213, v213                               // 0000000091E0: 7FAA0BD5
	v_cvt_f32_i32_e32 v214, v214                               // 0000000091E4: 7FAC0BD6
	v_cvt_f32_i32_e32 v215, v215                               // 0000000091E8: 7FAE0BD7
	v_mul_f32_e32 v212, v25, v212                              // 0000000091EC: 0BA9A919
	v_mul_f32_e32 v213, v25, v213                              // 0000000091F0: 0BABAB19
	v_mul_f32_e32 v214, v25, v214                              // 0000000091F4: 0BADAD19
	v_mul_f32_e32 v215, v25, v215                              // 0000000091F8: 0BAFAF19
	v_mul_f32_dpp v212, v13, v212 row_newbcast:4 row_mask:0xf bank_mask:0xf// 0000000091FC: 0BA9A8FA FF01540D
	v_mul_f32_dpp v213, v13, v213 row_newbcast:5 row_mask:0xf bank_mask:0xf// 000000009204: 0BABAAFA FF01550D
	v_mul_f32_dpp v214, v13, v214 row_newbcast:6 row_mask:0xf bank_mask:0xf// 00000000920C: 0BADACFA FF01560D
	v_mul_f32_dpp v215, v13, v215 row_newbcast:7 row_mask:0xf bank_mask:0xf// 000000009214: 0BAFAEFA FF01570D
	v_mul_f32_e32 v212, v21, v212                              // 00000000921C: 0BA9A915
	v_mul_f32_e32 v213, v21, v213                              // 000000009220: 0BABAB15
	v_mul_f32_e32 v214, v21, v214                              // 000000009224: 0BADAD15
	v_mul_f32_e32 v215, v21, v215                              // 000000009228: 0BAFAF15
	v_cvt_f32_i32_e32 v216, v216                               // 00000000922C: 7FB00BD8
	v_cvt_f32_i32_e32 v217, v217                               // 000000009230: 7FB20BD9
	v_cvt_f32_i32_e32 v218, v218                               // 000000009234: 7FB40BDA
	v_cvt_f32_i32_e32 v219, v219                               // 000000009238: 7FB60BDB
	v_mul_f32_e32 v216, v24, v216                              // 00000000923C: 0BB1B118
	v_mul_f32_e32 v217, v24, v217                              // 000000009240: 0BB3B318
	v_mul_f32_e32 v218, v24, v218                              // 000000009244: 0BB5B518
	v_mul_f32_e32 v219, v24, v219                              // 000000009248: 0BB7B718
	v_mul_f32_dpp v216, v13, v216 row_newbcast:8 row_mask:0xf bank_mask:0xf// 00000000924C: 0BB1B0FA FF01580D
	v_mul_f32_dpp v217, v13, v217 row_newbcast:9 row_mask:0xf bank_mask:0xf// 000000009254: 0BB3B2FA FF01590D
	v_mul_f32_dpp v218, v13, v218 row_newbcast:10 row_mask:0xf bank_mask:0xf// 00000000925C: 0BB5B4FA FF015A0D
	v_mul_f32_dpp v219, v13, v219 row_newbcast:11 row_mask:0xf bank_mask:0xf// 000000009264: 0BB7B6FA FF015B0D
	v_mul_f32_e32 v216, v20, v216                              // 00000000926C: 0BB1B114
	v_mul_f32_e32 v217, v20, v217                              // 000000009270: 0BB3B314
	v_mul_f32_e32 v218, v20, v218                              // 000000009274: 0BB5B514
	v_mul_f32_e32 v219, v20, v219                              // 000000009278: 0BB7B714
	v_cvt_f32_i32_e32 v220, v220                               // 00000000927C: 7FB80BDC
	v_cvt_f32_i32_e32 v221, v221                               // 000000009280: 7FBA0BDD
	v_cvt_f32_i32_e32 v222, v222                               // 000000009284: 7FBC0BDE
	v_cvt_f32_i32_e32 v223, v223                               // 000000009288: 7FBE0BDF
	v_mul_f32_e32 v220, v25, v220                              // 00000000928C: 0BB9B919
	v_mul_f32_e32 v221, v25, v221                              // 000000009290: 0BBBBB19
	v_mul_f32_e32 v222, v25, v222                              // 000000009294: 0BBDBD19
	v_mul_f32_e32 v223, v25, v223                              // 000000009298: 0BBFBF19
	v_mul_f32_dpp v220, v13, v220 row_newbcast:8 row_mask:0xf bank_mask:0xf// 00000000929C: 0BB9B8FA FF01580D
	v_mul_f32_dpp v221, v13, v221 row_newbcast:9 row_mask:0xf bank_mask:0xf// 0000000092A4: 0BBBBAFA FF01590D
	v_mul_f32_dpp v222, v13, v222 row_newbcast:10 row_mask:0xf bank_mask:0xf// 0000000092AC: 0BBDBCFA FF015A0D
	v_mul_f32_dpp v223, v13, v223 row_newbcast:11 row_mask:0xf bank_mask:0xf// 0000000092B4: 0BBFBEFA FF015B0D
	v_mul_f32_e32 v220, v21, v220                              // 0000000092BC: 0BB9B915
	v_mul_f32_e32 v221, v21, v221                              // 0000000092C0: 0BBBBB15
	v_mul_f32_e32 v222, v21, v222                              // 0000000092C4: 0BBDBD15
	v_mul_f32_e32 v223, v21, v223                              // 0000000092C8: 0BBFBF15
	v_cvt_f32_i32_e32 v224, v224                               // 0000000092CC: 7FC00BE0
	v_cvt_f32_i32_e32 v225, v225                               // 0000000092D0: 7FC20BE1
	v_cvt_f32_i32_e32 v226, v226                               // 0000000092D4: 7FC40BE2
	v_cvt_f32_i32_e32 v227, v227                               // 0000000092D8: 7FC60BE3
	v_mul_f32_e32 v224, v24, v224                              // 0000000092DC: 0BC1C118
	v_mul_f32_e32 v225, v24, v225                              // 0000000092E0: 0BC3C318
	v_mul_f32_e32 v226, v24, v226                              // 0000000092E4: 0BC5C518
	v_mul_f32_e32 v227, v24, v227                              // 0000000092E8: 0BC7C718
	v_mul_f32_dpp v224, v13, v224 row_newbcast:12 row_mask:0xf bank_mask:0xf// 0000000092EC: 0BC1C0FA FF015C0D
	v_mul_f32_dpp v225, v13, v225 row_newbcast:13 row_mask:0xf bank_mask:0xf// 0000000092F4: 0BC3C2FA FF015D0D
	v_mul_f32_dpp v226, v13, v226 row_newbcast:14 row_mask:0xf bank_mask:0xf// 0000000092FC: 0BC5C4FA FF015E0D
	v_mul_f32_dpp v227, v13, v227 row_newbcast:15 row_mask:0xf bank_mask:0xf// 000000009304: 0BC7C6FA FF015F0D
	v_mul_f32_e32 v224, v20, v224                              // 00000000930C: 0BC1C114
	v_mul_f32_e32 v225, v20, v225                              // 000000009310: 0BC3C314
	v_mul_f32_e32 v226, v20, v226                              // 000000009314: 0BC5C514
	v_mul_f32_e32 v227, v20, v227                              // 000000009318: 0BC7C714
	v_cvt_f32_i32_e32 v228, v228                               // 00000000931C: 7FC80BE4
	v_cvt_f32_i32_e32 v229, v229                               // 000000009320: 7FCA0BE5
	v_cvt_f32_i32_e32 v230, v230                               // 000000009324: 7FCC0BE6
	v_cvt_f32_i32_e32 v231, v231                               // 000000009328: 7FCE0BE7
	v_mul_f32_e32 v228, v25, v228                              // 00000000932C: 0BC9C919
	v_mul_f32_e32 v229, v25, v229                              // 000000009330: 0BCBCB19
	v_mul_f32_e32 v230, v25, v230                              // 000000009334: 0BCDCD19
	v_mul_f32_e32 v231, v25, v231                              // 000000009338: 0BCFCF19
	v_mul_f32_dpp v228, v13, v228 row_newbcast:12 row_mask:0xf bank_mask:0xf// 00000000933C: 0BC9C8FA FF015C0D
	v_mul_f32_dpp v229, v13, v229 row_newbcast:13 row_mask:0xf bank_mask:0xf// 000000009344: 0BCBCAFA FF015D0D
	v_mul_f32_dpp v230, v13, v230 row_newbcast:14 row_mask:0xf bank_mask:0xf// 00000000934C: 0BCDCCFA FF015E0D
	v_mul_f32_dpp v231, v13, v231 row_newbcast:15 row_mask:0xf bank_mask:0xf// 000000009354: 0BCFCEFA FF015F0D
	v_mul_f32_e32 v228, v21, v228                              // 00000000935C: 0BC9C915
	v_mul_f32_e32 v229, v21, v229                              // 000000009360: 0BCBCB15
	v_mul_f32_e32 v230, v21, v230                              // 000000009364: 0BCDCD15
	v_mul_f32_e32 v231, v21, v231                              // 000000009368: 0BCFCF15
	v_cmp_u_f32_e64 s[48:49], v200, v200                       // 00000000936C: D0480030 000391C8
	v_add3_u32 v43, v200, v46, 1                               // 000000009374: D1FF002B 02065DC8
	v_cndmask_b32_e64 v48, v43, v45, s[48:49]                  // 00000000937C: D1000030 00C25B2B
	v_cmp_u_f32_e64 s[48:49], v201, v201                       // 000000009384: D0480030 000393C9
	v_add3_u32 v43, v201, v46, 1                               // 00000000938C: D1FF002B 02065DC9
	v_cndmask_b32_e64 v49, v43, v45, s[48:49]                  // 000000009394: D1000031 00C25B2B
	v_perm_b32 v200, v49, v48, s52                             // 00000000939C: D1ED00C8 00D26131
	v_cmp_u_f32_e64 s[48:49], v202, v202                       // 0000000093A4: D0480030 000395CA
	v_add3_u32 v43, v202, v46, 1                               // 0000000093AC: D1FF002B 02065DCA
	v_cndmask_b32_e64 v48, v43, v45, s[48:49]                  // 0000000093B4: D1000030 00C25B2B
	v_cmp_u_f32_e64 s[48:49], v203, v203                       // 0000000093BC: D0480030 000397CB
	v_add3_u32 v43, v203, v46, 1                               // 0000000093C4: D1FF002B 02065DCB
	v_cndmask_b32_e64 v49, v43, v45, s[48:49]                  // 0000000093CC: D1000031 00C25B2B
	v_perm_b32 v201, v49, v48, s52                             // 0000000093D4: D1ED00C9 00D26131
	v_cmp_u_f32_e64 s[48:49], v204, v204                       // 0000000093DC: D0480030 000399CC
	v_add3_u32 v43, v204, v46, 1                               // 0000000093E4: D1FF002B 02065DCC
	v_cndmask_b32_e64 v48, v43, v45, s[48:49]                  // 0000000093EC: D1000030 00C25B2B
	v_cmp_u_f32_e64 s[48:49], v205, v205                       // 0000000093F4: D0480030 00039BCD
	v_add3_u32 v43, v205, v46, 1                               // 0000000093FC: D1FF002B 02065DCD
	v_cndmask_b32_e64 v49, v43, v45, s[48:49]                  // 000000009404: D1000031 00C25B2B
	v_perm_b32 v202, v49, v48, s52                             // 00000000940C: D1ED00CA 00D26131
	v_cmp_u_f32_e64 s[48:49], v206, v206                       // 000000009414: D0480030 00039DCE
	v_add3_u32 v43, v206, v46, 1                               // 00000000941C: D1FF002B 02065DCE
	v_cndmask_b32_e64 v48, v43, v45, s[48:49]                  // 000000009424: D1000030 00C25B2B
	v_cmp_u_f32_e64 s[48:49], v207, v207                       // 00000000942C: D0480030 00039FCF
	v_add3_u32 v43, v207, v46, 1                               // 000000009434: D1FF002B 02065DCF
	v_cndmask_b32_e64 v49, v43, v45, s[48:49]                  // 00000000943C: D1000031 00C25B2B
	v_perm_b32 v203, v49, v48, s52                             // 000000009444: D1ED00CB 00D26131
	v_cmp_u_f32_e64 s[48:49], v208, v208                       // 00000000944C: D0480030 0003A1D0
	v_add3_u32 v43, v208, v46, 1                               // 000000009454: D1FF002B 02065DD0
	v_cndmask_b32_e64 v48, v43, v45, s[48:49]                  // 00000000945C: D1000030 00C25B2B
	v_cmp_u_f32_e64 s[48:49], v209, v209                       // 000000009464: D0480030 0003A3D1
	v_add3_u32 v43, v209, v46, 1                               // 00000000946C: D1FF002B 02065DD1
	v_cndmask_b32_e64 v49, v43, v45, s[48:49]                  // 000000009474: D1000031 00C25B2B
	v_perm_b32 v204, v49, v48, s52                             // 00000000947C: D1ED00CC 00D26131
	v_cmp_u_f32_e64 s[48:49], v210, v210                       // 000000009484: D0480030 0003A5D2
	v_add3_u32 v43, v210, v46, 1                               // 00000000948C: D1FF002B 02065DD2
	v_cndmask_b32_e64 v48, v43, v45, s[48:49]                  // 000000009494: D1000030 00C25B2B
	v_cmp_u_f32_e64 s[48:49], v211, v211                       // 00000000949C: D0480030 0003A7D3
	v_add3_u32 v43, v211, v46, 1                               // 0000000094A4: D1FF002B 02065DD3
	v_cndmask_b32_e64 v49, v43, v45, s[48:49]                  // 0000000094AC: D1000031 00C25B2B
	v_perm_b32 v205, v49, v48, s52                             // 0000000094B4: D1ED00CD 00D26131
	v_cmp_u_f32_e64 s[48:49], v212, v212                       // 0000000094BC: D0480030 0003A9D4
	v_add3_u32 v43, v212, v46, 1                               // 0000000094C4: D1FF002B 02065DD4
	v_cndmask_b32_e64 v48, v43, v45, s[48:49]                  // 0000000094CC: D1000030 00C25B2B
	v_cmp_u_f32_e64 s[48:49], v213, v213                       // 0000000094D4: D0480030 0003ABD5
	v_add3_u32 v43, v213, v46, 1                               // 0000000094DC: D1FF002B 02065DD5
	v_cndmask_b32_e64 v49, v43, v45, s[48:49]                  // 0000000094E4: D1000031 00C25B2B
	v_perm_b32 v206, v49, v48, s52                             // 0000000094EC: D1ED00CE 00D26131
	v_cmp_u_f32_e64 s[48:49], v214, v214                       // 0000000094F4: D0480030 0003ADD6
	v_add3_u32 v43, v214, v46, 1                               // 0000000094FC: D1FF002B 02065DD6
	v_cndmask_b32_e64 v48, v43, v45, s[48:49]                  // 000000009504: D1000030 00C25B2B
	v_cmp_u_f32_e64 s[48:49], v215, v215                       // 00000000950C: D0480030 0003AFD7
	v_add3_u32 v43, v215, v46, 1                               // 000000009514: D1FF002B 02065DD7
	v_cndmask_b32_e64 v49, v43, v45, s[48:49]                  // 00000000951C: D1000031 00C25B2B
	v_perm_b32 v207, v49, v48, s52                             // 000000009524: D1ED00CF 00D26131
	v_cmp_u_f32_e64 s[48:49], v216, v216                       // 00000000952C: D0480030 0003B1D8
	v_add3_u32 v43, v216, v46, 1                               // 000000009534: D1FF002B 02065DD8
	v_cndmask_b32_e64 v48, v43, v45, s[48:49]                  // 00000000953C: D1000030 00C25B2B
	v_cmp_u_f32_e64 s[48:49], v217, v217                       // 000000009544: D0480030 0003B3D9
	v_add3_u32 v43, v217, v46, 1                               // 00000000954C: D1FF002B 02065DD9
	v_cndmask_b32_e64 v49, v43, v45, s[48:49]                  // 000000009554: D1000031 00C25B2B
	v_perm_b32 v208, v49, v48, s52                             // 00000000955C: D1ED00D0 00D26131
	v_cmp_u_f32_e64 s[48:49], v218, v218                       // 000000009564: D0480030 0003B5DA
	v_add3_u32 v43, v218, v46, 1                               // 00000000956C: D1FF002B 02065DDA
	v_cndmask_b32_e64 v48, v43, v45, s[48:49]                  // 000000009574: D1000030 00C25B2B
	v_cmp_u_f32_e64 s[48:49], v219, v219                       // 00000000957C: D0480030 0003B7DB
	v_add3_u32 v43, v219, v46, 1                               // 000000009584: D1FF002B 02065DDB
	v_cndmask_b32_e64 v49, v43, v45, s[48:49]                  // 00000000958C: D1000031 00C25B2B
	v_perm_b32 v209, v49, v48, s52                             // 000000009594: D1ED00D1 00D26131
	v_cmp_u_f32_e64 s[48:49], v220, v220                       // 00000000959C: D0480030 0003B9DC
	v_add3_u32 v43, v220, v46, 1                               // 0000000095A4: D1FF002B 02065DDC
	v_cndmask_b32_e64 v48, v43, v45, s[48:49]                  // 0000000095AC: D1000030 00C25B2B
	v_cmp_u_f32_e64 s[48:49], v221, v221                       // 0000000095B4: D0480030 0003BBDD
	v_add3_u32 v43, v221, v46, 1                               // 0000000095BC: D1FF002B 02065DDD
	v_cndmask_b32_e64 v49, v43, v45, s[48:49]                  // 0000000095C4: D1000031 00C25B2B
	v_perm_b32 v210, v49, v48, s52                             // 0000000095CC: D1ED00D2 00D26131
	v_cmp_u_f32_e64 s[48:49], v222, v222                       // 0000000095D4: D0480030 0003BDDE
	v_add3_u32 v43, v222, v46, 1                               // 0000000095DC: D1FF002B 02065DDE
	v_cndmask_b32_e64 v48, v43, v45, s[48:49]                  // 0000000095E4: D1000030 00C25B2B
	v_cmp_u_f32_e64 s[48:49], v223, v223                       // 0000000095EC: D0480030 0003BFDF
	v_add3_u32 v43, v223, v46, 1                               // 0000000095F4: D1FF002B 02065DDF
	v_cndmask_b32_e64 v49, v43, v45, s[48:49]                  // 0000000095FC: D1000031 00C25B2B
	v_perm_b32 v211, v49, v48, s52                             // 000000009604: D1ED00D3 00D26131
	v_cmp_u_f32_e64 s[48:49], v224, v224                       // 00000000960C: D0480030 0003C1E0
	v_add3_u32 v43, v224, v46, 1                               // 000000009614: D1FF002B 02065DE0
	v_cndmask_b32_e64 v48, v43, v45, s[48:49]                  // 00000000961C: D1000030 00C25B2B
	v_cmp_u_f32_e64 s[48:49], v225, v225                       // 000000009624: D0480030 0003C3E1
	v_add3_u32 v43, v225, v46, 1                               // 00000000962C: D1FF002B 02065DE1
	v_cndmask_b32_e64 v49, v43, v45, s[48:49]                  // 000000009634: D1000031 00C25B2B
	v_perm_b32 v212, v49, v48, s52                             // 00000000963C: D1ED00D4 00D26131
	v_cmp_u_f32_e64 s[48:49], v226, v226                       // 000000009644: D0480030 0003C5E2
	v_add3_u32 v43, v226, v46, 1                               // 00000000964C: D1FF002B 02065DE2
	v_cndmask_b32_e64 v48, v43, v45, s[48:49]                  // 000000009654: D1000030 00C25B2B
	v_cmp_u_f32_e64 s[48:49], v227, v227                       // 00000000965C: D0480030 0003C7E3
	v_add3_u32 v43, v227, v46, 1                               // 000000009664: D1FF002B 02065DE3
	v_cndmask_b32_e64 v49, v43, v45, s[48:49]                  // 00000000966C: D1000031 00C25B2B
	v_perm_b32 v213, v49, v48, s52                             // 000000009674: D1ED00D5 00D26131
	v_cmp_u_f32_e64 s[48:49], v228, v228                       // 00000000967C: D0480030 0003C9E4
	v_add3_u32 v43, v228, v46, 1                               // 000000009684: D1FF002B 02065DE4
	v_cndmask_b32_e64 v48, v43, v45, s[48:49]                  // 00000000968C: D1000030 00C25B2B
	v_cmp_u_f32_e64 s[48:49], v229, v229                       // 000000009694: D0480030 0003CBE5
	v_add3_u32 v43, v229, v46, 1                               // 00000000969C: D1FF002B 02065DE5
	v_cndmask_b32_e64 v49, v43, v45, s[48:49]                  // 0000000096A4: D1000031 00C25B2B
	v_perm_b32 v214, v49, v48, s52                             // 0000000096AC: D1ED00D6 00D26131
	v_cmp_u_f32_e64 s[48:49], v230, v230                       // 0000000096B4: D0480030 0003CDE6
	v_add3_u32 v43, v230, v46, 1                               // 0000000096BC: D1FF002B 02065DE6
	v_cndmask_b32_e64 v48, v43, v45, s[48:49]                  // 0000000096C4: D1000030 00C25B2B
	v_cmp_u_f32_e64 s[48:49], v231, v231                       // 0000000096CC: D0480030 0003CFE7
	v_add3_u32 v43, v231, v46, 1                               // 0000000096D4: D1FF002B 02065DE7
	v_cndmask_b32_e64 v49, v43, v45, s[48:49]                  // 0000000096DC: D1000031 00C25B2B
	v_perm_b32 v215, v49, v48, s52                             // 0000000096E4: D1ED00D7 00D26131
	ds_write_b64 v3, v[200:201] offset:28928                   // 0000000096EC: D89A7100 0000C803
	ds_write_b64 v3, v[202:203] offset:37632                   // 0000000096F4: D89A9300 0000CA03
	ds_write_b64 v3, v[204:205] offset:31104                   // 0000000096FC: D89A7980 0000CC03
	ds_write_b64 v3, v[206:207] offset:39808                   // 000000009704: D89A9B80 0000CE03
	ds_write_b64 v3, v[208:209] offset:33280                   // 00000000970C: D89A8200 0000D003
	ds_write_b64 v3, v[210:211] offset:41984                   // 000000009714: D89AA400 0000D203
	ds_write_b64 v3, v[212:213] offset:35456                   // 00000000971C: D89A8A80 0000D403
	ds_write_b64 v3, v[214:215] offset:44160                   // 000000009724: D89AAC80 0000D603
	s_waitcnt lgkmcnt(0)                                       // 00000000972C: BF8CC07F
	s_barrier                                                  // 000000009730: BF8A0000
	ds_read_b32 v64, v4 offset:28928                           // 000000009734: D86C7100 40000004
	ds_read_b32 v65, v4 offset:33280                           // 00000000973C: D86C8200 41000004
	ds_read_b32 v66, v4 offset:28960                           // 000000009744: D86C7120 42000004
	ds_read_b32 v67, v4 offset:33312                           // 00000000974C: D86C8220 43000004
	ds_read_b32 v68, v4 offset:28992                           // 000000009754: D86C7140 44000004
	ds_read_b32 v69, v4 offset:33344                           // 00000000975C: D86C8240 45000004
	ds_read_b32 v70, v4 offset:29024                           // 000000009764: D86C7160 46000004
	ds_read_b32 v71, v4 offset:33376                           // 00000000976C: D86C8260 47000004
	ds_read_b32 v72, v4 offset:37632                           // 000000009774: D86C9300 48000004
	ds_read_b32 v73, v4 offset:41984                           // 00000000977C: D86CA400 49000004
	ds_read_b32 v74, v4 offset:37664                           // 000000009784: D86C9320 4A000004
	ds_read_b32 v75, v4 offset:42016                           // 00000000978C: D86CA420 4B000004
	ds_read_b32 v76, v4 offset:37696                           // 000000009794: D86C9340 4C000004
	ds_read_b32 v77, v4 offset:42048                           // 00000000979C: D86CA440 4D000004
	ds_read_b32 v78, v4 offset:37728                           // 0000000097A4: D86C9360 4E000004
	ds_read_b32 v79, v4 offset:42080                           // 0000000097AC: D86CA460 4F000004
	s_waitcnt lgkmcnt(0)                                       // 0000000097B4: BF8CC07F
	s_mov_b64 exec, s[20:21]                                   // 0000000097B8: BEFE0114
	global_atomic_pk_add_bf16 v80, v64, s[8:9]                 // 0000000097BC: DD488000 00084050
	s_mov_b64 exec, s[36:37]                                   // 0000000097C4: BEFE0124
	s_mov_b64 exec, s[20:21]                                   // 0000000097C8: BEFE0114
	global_atomic_pk_add_bf16 v80, v65, s[8:9] offset:256      // 0000000097CC: DD488100 00084150
	s_mov_b64 exec, s[36:37]                                   // 0000000097D4: BEFE0124
	s_mov_b64 exec, s[22:23]                                   // 0000000097D8: BEFE0116
	global_atomic_pk_add_bf16 v82, v66, s[8:9]                 // 0000000097DC: DD488000 00084252
	s_mov_b64 exec, s[36:37]                                   // 0000000097E4: BEFE0124
	s_mov_b64 exec, s[22:23]                                   // 0000000097E8: BEFE0116
	global_atomic_pk_add_bf16 v82, v67, s[8:9] offset:256      // 0000000097EC: DD488100 00084352
	s_mov_b64 exec, s[36:37]                                   // 0000000097F4: BEFE0124
	s_mov_b64 exec, s[24:25]                                   // 0000000097F8: BEFE0118
	global_atomic_pk_add_bf16 v84, v68, s[8:9]                 // 0000000097FC: DD488000 00084454
	s_mov_b64 exec, s[36:37]                                   // 000000009804: BEFE0124
	s_mov_b64 exec, s[24:25]                                   // 000000009808: BEFE0118
	global_atomic_pk_add_bf16 v84, v69, s[8:9] offset:256      // 00000000980C: DD488100 00084554
	s_mov_b64 exec, s[36:37]                                   // 000000009814: BEFE0124
	s_mov_b64 exec, s[26:27]                                   // 000000009818: BEFE011A
	global_atomic_pk_add_bf16 v86, v70, s[8:9]                 // 00000000981C: DD488000 00084656
	s_mov_b64 exec, s[36:37]                                   // 000000009824: BEFE0124
	s_mov_b64 exec, s[26:27]                                   // 000000009828: BEFE011A
	global_atomic_pk_add_bf16 v86, v71, s[8:9] offset:256      // 00000000982C: DD488100 00084756
	s_mov_b64 exec, s[36:37]                                   // 000000009834: BEFE0124
	s_mov_b64 exec, s[28:29]                                   // 000000009838: BEFE011C
	global_atomic_pk_add_bf16 v88, v72, s[8:9]                 // 00000000983C: DD488000 00084858
	s_mov_b64 exec, s[36:37]                                   // 000000009844: BEFE0124
	s_mov_b64 exec, s[28:29]                                   // 000000009848: BEFE011C
	global_atomic_pk_add_bf16 v88, v73, s[8:9] offset:256      // 00000000984C: DD488100 00084958
	s_mov_b64 exec, s[36:37]                                   // 000000009854: BEFE0124
	s_mov_b64 exec, s[30:31]                                   // 000000009858: BEFE011E
	global_atomic_pk_add_bf16 v90, v74, s[8:9]                 // 00000000985C: DD488000 00084A5A
	s_mov_b64 exec, s[36:37]                                   // 000000009864: BEFE0124
	s_mov_b64 exec, s[30:31]                                   // 000000009868: BEFE011E
	global_atomic_pk_add_bf16 v90, v75, s[8:9] offset:256      // 00000000986C: DD488100 00084B5A
	s_mov_b64 exec, s[36:37]                                   // 000000009874: BEFE0124
	s_mov_b64 exec, s[32:33]                                   // 000000009878: BEFE0120
	global_atomic_pk_add_bf16 v92, v76, s[8:9]                 // 00000000987C: DD488000 00084C5C
	s_mov_b64 exec, s[36:37]                                   // 000000009884: BEFE0124
	s_mov_b64 exec, s[32:33]                                   // 000000009888: BEFE0120
	global_atomic_pk_add_bf16 v92, v77, s[8:9] offset:256      // 00000000988C: DD488100 00084D5C
	s_mov_b64 exec, s[36:37]                                   // 000000009894: BEFE0124
	s_mov_b64 exec, s[34:35]                                   // 000000009898: BEFE0122
	global_atomic_pk_add_bf16 v94, v78, s[8:9]                 // 00000000989C: DD488000 00084E5E
	s_mov_b64 exec, s[36:37]                                   // 0000000098A4: BEFE0124
	s_mov_b64 exec, s[34:35]                                   // 0000000098A8: BEFE0122
	global_atomic_pk_add_bf16 v94, v79, s[8:9] offset:256      // 0000000098AC: DD488100 00084F5E
	s_mov_b64 exec, s[36:37]                                   // 0000000098B4: BEFE0124
	s_add_u32 s8, s59, s8                                      // 0000000098B8: 8008083B
	s_addc_u32 s9, 0, s9                                       // 0000000098BC: 82090980
	s_addk_i32 s80, 0x100                                      // 0000000098C0: B7500100
	s_cmp_lt_i32 s80, s81                                      // 0000000098C4: BF045150
	s_cbranch_scc0 label_0E91                                  // 0000000098C8: BF84F3DE
	s_branch label_14FF                                        // 0000000098CC: BF82FA4B

00000000000098d0 <label_1AB4>:
	s_waitcnt vmcnt(0) expcnt(0) lgkmcnt(0)                    // 0000000098D0: BF8C0000
	s_endpgm                                                   // 0000000098D4: BF810000
